;; amdgpu-corpus repo=ROCm/rocFFT kind=compiled arch=gfx906 opt=O3
	.text
	.amdgcn_target "amdgcn-amd-amdhsa--gfx906"
	.amdhsa_code_object_version 6
	.protected	fft_rtc_fwd_len1815_factors_11_3_5_11_wgs_165_tpt_165_half_ip_CI_sbrr_dirReg ; -- Begin function fft_rtc_fwd_len1815_factors_11_3_5_11_wgs_165_tpt_165_half_ip_CI_sbrr_dirReg
	.globl	fft_rtc_fwd_len1815_factors_11_3_5_11_wgs_165_tpt_165_half_ip_CI_sbrr_dirReg
	.p2align	8
	.type	fft_rtc_fwd_len1815_factors_11_3_5_11_wgs_165_tpt_165_half_ip_CI_sbrr_dirReg,@function
fft_rtc_fwd_len1815_factors_11_3_5_11_wgs_165_tpt_165_half_ip_CI_sbrr_dirReg: ; @fft_rtc_fwd_len1815_factors_11_3_5_11_wgs_165_tpt_165_half_ip_CI_sbrr_dirReg
; %bb.0:
	s_load_dwordx2 s[14:15], s[4:5], 0x18
	s_load_dwordx4 s[8:11], s[4:5], 0x0
	s_load_dwordx2 s[12:13], s[4:5], 0x50
	v_mul_u32_u24_e32 v1, 0x18e, v0
	v_add_u32_sdwa v5, s6, v1 dst_sel:DWORD dst_unused:UNUSED_PAD src0_sel:DWORD src1_sel:WORD_1
	s_waitcnt lgkmcnt(0)
	s_load_dwordx2 s[2:3], s[14:15], 0x0
	v_cmp_lt_u64_e64 s[0:1], s[10:11], 2
	v_mov_b32_e32 v3, 0
	v_mov_b32_e32 v1, 0
	;; [unrolled: 1-line block ×3, first 2 shown]
	s_and_b64 vcc, exec, s[0:1]
	v_mov_b32_e32 v2, 0
	s_cbranch_vccnz .LBB0_8
; %bb.1:
	s_load_dwordx2 s[0:1], s[4:5], 0x10
	s_add_u32 s6, s14, 8
	s_addc_u32 s7, s15, 0
	v_mov_b32_e32 v1, 0
	v_mov_b32_e32 v2, 0
	s_waitcnt lgkmcnt(0)
	s_add_u32 s16, s0, 8
	s_addc_u32 s17, s1, 0
	s_mov_b64 s[18:19], 1
.LBB0_2:                                ; =>This Inner Loop Header: Depth=1
	s_load_dwordx2 s[20:21], s[16:17], 0x0
                                        ; implicit-def: $vgpr7_vgpr8
	s_waitcnt lgkmcnt(0)
	v_or_b32_e32 v4, s21, v6
	v_cmp_ne_u64_e32 vcc, 0, v[3:4]
	s_and_saveexec_b64 s[0:1], vcc
	s_xor_b64 s[22:23], exec, s[0:1]
	s_cbranch_execz .LBB0_4
; %bb.3:                                ;   in Loop: Header=BB0_2 Depth=1
	v_cvt_f32_u32_e32 v4, s20
	v_cvt_f32_u32_e32 v7, s21
	s_sub_u32 s0, 0, s20
	s_subb_u32 s1, 0, s21
	v_mac_f32_e32 v4, 0x4f800000, v7
	v_rcp_f32_e32 v4, v4
	v_mul_f32_e32 v4, 0x5f7ffffc, v4
	v_mul_f32_e32 v7, 0x2f800000, v4
	v_trunc_f32_e32 v7, v7
	v_mac_f32_e32 v4, 0xcf800000, v7
	v_cvt_u32_f32_e32 v7, v7
	v_cvt_u32_f32_e32 v4, v4
	v_mul_lo_u32 v8, s0, v7
	v_mul_hi_u32 v9, s0, v4
	v_mul_lo_u32 v11, s1, v4
	v_mul_lo_u32 v10, s0, v4
	v_add_u32_e32 v8, v9, v8
	v_add_u32_e32 v8, v8, v11
	v_mul_hi_u32 v9, v4, v10
	v_mul_lo_u32 v11, v4, v8
	v_mul_hi_u32 v13, v4, v8
	v_mul_hi_u32 v12, v7, v10
	v_mul_lo_u32 v10, v7, v10
	v_mul_hi_u32 v14, v7, v8
	v_add_co_u32_e32 v9, vcc, v9, v11
	v_addc_co_u32_e32 v11, vcc, 0, v13, vcc
	v_mul_lo_u32 v8, v7, v8
	v_add_co_u32_e32 v9, vcc, v9, v10
	v_addc_co_u32_e32 v9, vcc, v11, v12, vcc
	v_addc_co_u32_e32 v10, vcc, 0, v14, vcc
	v_add_co_u32_e32 v8, vcc, v9, v8
	v_addc_co_u32_e32 v9, vcc, 0, v10, vcc
	v_add_co_u32_e32 v4, vcc, v4, v8
	v_addc_co_u32_e32 v7, vcc, v7, v9, vcc
	v_mul_lo_u32 v8, s0, v7
	v_mul_hi_u32 v9, s0, v4
	v_mul_lo_u32 v10, s1, v4
	v_mul_lo_u32 v11, s0, v4
	v_add_u32_e32 v8, v9, v8
	v_add_u32_e32 v8, v8, v10
	v_mul_lo_u32 v12, v4, v8
	v_mul_hi_u32 v13, v4, v11
	v_mul_hi_u32 v14, v4, v8
	;; [unrolled: 1-line block ×3, first 2 shown]
	v_mul_lo_u32 v11, v7, v11
	v_mul_hi_u32 v9, v7, v8
	v_add_co_u32_e32 v12, vcc, v13, v12
	v_addc_co_u32_e32 v13, vcc, 0, v14, vcc
	v_mul_lo_u32 v8, v7, v8
	v_add_co_u32_e32 v11, vcc, v12, v11
	v_addc_co_u32_e32 v10, vcc, v13, v10, vcc
	v_addc_co_u32_e32 v9, vcc, 0, v9, vcc
	v_add_co_u32_e32 v8, vcc, v10, v8
	v_addc_co_u32_e32 v9, vcc, 0, v9, vcc
	v_add_co_u32_e32 v4, vcc, v4, v8
	v_addc_co_u32_e32 v9, vcc, v7, v9, vcc
	v_mad_u64_u32 v[7:8], s[0:1], v5, v9, 0
	v_mul_hi_u32 v10, v5, v4
	v_add_co_u32_e32 v11, vcc, v10, v7
	v_addc_co_u32_e32 v12, vcc, 0, v8, vcc
	v_mad_u64_u32 v[7:8], s[0:1], v6, v4, 0
	v_mad_u64_u32 v[9:10], s[0:1], v6, v9, 0
	v_add_co_u32_e32 v4, vcc, v11, v7
	v_addc_co_u32_e32 v4, vcc, v12, v8, vcc
	v_addc_co_u32_e32 v7, vcc, 0, v10, vcc
	v_add_co_u32_e32 v4, vcc, v4, v9
	v_addc_co_u32_e32 v9, vcc, 0, v7, vcc
	v_mul_lo_u32 v10, s21, v4
	v_mul_lo_u32 v11, s20, v9
	v_mad_u64_u32 v[7:8], s[0:1], s20, v4, 0
	v_add3_u32 v8, v8, v11, v10
	v_sub_u32_e32 v10, v6, v8
	v_mov_b32_e32 v11, s21
	v_sub_co_u32_e32 v7, vcc, v5, v7
	v_subb_co_u32_e64 v10, s[0:1], v10, v11, vcc
	v_subrev_co_u32_e64 v11, s[0:1], s20, v7
	v_subbrev_co_u32_e64 v10, s[0:1], 0, v10, s[0:1]
	v_cmp_le_u32_e64 s[0:1], s21, v10
	v_cndmask_b32_e64 v12, 0, -1, s[0:1]
	v_cmp_le_u32_e64 s[0:1], s20, v11
	v_cndmask_b32_e64 v11, 0, -1, s[0:1]
	v_cmp_eq_u32_e64 s[0:1], s21, v10
	v_cndmask_b32_e64 v10, v12, v11, s[0:1]
	v_add_co_u32_e64 v11, s[0:1], 2, v4
	v_addc_co_u32_e64 v12, s[0:1], 0, v9, s[0:1]
	v_add_co_u32_e64 v13, s[0:1], 1, v4
	v_addc_co_u32_e64 v14, s[0:1], 0, v9, s[0:1]
	v_subb_co_u32_e32 v8, vcc, v6, v8, vcc
	v_cmp_ne_u32_e64 s[0:1], 0, v10
	v_cmp_le_u32_e32 vcc, s21, v8
	v_cndmask_b32_e64 v10, v14, v12, s[0:1]
	v_cndmask_b32_e64 v12, 0, -1, vcc
	v_cmp_le_u32_e32 vcc, s20, v7
	v_cndmask_b32_e64 v7, 0, -1, vcc
	v_cmp_eq_u32_e32 vcc, s21, v8
	v_cndmask_b32_e32 v7, v12, v7, vcc
	v_cmp_ne_u32_e32 vcc, 0, v7
	v_cndmask_b32_e64 v7, v13, v11, s[0:1]
	v_cndmask_b32_e32 v8, v9, v10, vcc
	v_cndmask_b32_e32 v7, v4, v7, vcc
.LBB0_4:                                ;   in Loop: Header=BB0_2 Depth=1
	s_andn2_saveexec_b64 s[0:1], s[22:23]
	s_cbranch_execz .LBB0_6
; %bb.5:                                ;   in Loop: Header=BB0_2 Depth=1
	v_cvt_f32_u32_e32 v4, s20
	s_sub_i32 s22, 0, s20
	v_rcp_iflag_f32_e32 v4, v4
	v_mul_f32_e32 v4, 0x4f7ffffe, v4
	v_cvt_u32_f32_e32 v4, v4
	v_mul_lo_u32 v7, s22, v4
	v_mul_hi_u32 v7, v4, v7
	v_add_u32_e32 v4, v4, v7
	v_mul_hi_u32 v4, v5, v4
	v_mul_lo_u32 v7, v4, s20
	v_add_u32_e32 v8, 1, v4
	v_sub_u32_e32 v7, v5, v7
	v_subrev_u32_e32 v9, s20, v7
	v_cmp_le_u32_e32 vcc, s20, v7
	v_cndmask_b32_e32 v7, v7, v9, vcc
	v_cndmask_b32_e32 v4, v4, v8, vcc
	v_add_u32_e32 v8, 1, v4
	v_cmp_le_u32_e32 vcc, s20, v7
	v_cndmask_b32_e32 v7, v4, v8, vcc
	v_mov_b32_e32 v8, v3
.LBB0_6:                                ;   in Loop: Header=BB0_2 Depth=1
	s_or_b64 exec, exec, s[0:1]
	v_mul_lo_u32 v4, v8, s20
	v_mul_lo_u32 v11, v7, s21
	v_mad_u64_u32 v[9:10], s[0:1], v7, s20, 0
	s_load_dwordx2 s[0:1], s[6:7], 0x0
	s_add_u32 s18, s18, 1
	v_add3_u32 v4, v10, v11, v4
	v_sub_co_u32_e32 v5, vcc, v5, v9
	v_subb_co_u32_e32 v4, vcc, v6, v4, vcc
	s_waitcnt lgkmcnt(0)
	v_mul_lo_u32 v4, s0, v4
	v_mul_lo_u32 v6, s1, v5
	v_mad_u64_u32 v[1:2], s[0:1], s0, v5, v[1:2]
	s_addc_u32 s19, s19, 0
	s_add_u32 s6, s6, 8
	v_add3_u32 v2, v6, v2, v4
	v_mov_b32_e32 v4, s10
	v_mov_b32_e32 v5, s11
	s_addc_u32 s7, s7, 0
	v_cmp_ge_u64_e32 vcc, s[18:19], v[4:5]
	s_add_u32 s16, s16, 8
	s_addc_u32 s17, s17, 0
	s_cbranch_vccnz .LBB0_9
; %bb.7:                                ;   in Loop: Header=BB0_2 Depth=1
	v_mov_b32_e32 v5, v7
	v_mov_b32_e32 v6, v8
	s_branch .LBB0_2
.LBB0_8:
	v_mov_b32_e32 v8, v6
	v_mov_b32_e32 v7, v5
.LBB0_9:
	s_lshl_b64 s[0:1], s[10:11], 3
	s_add_u32 s0, s14, s0
	s_addc_u32 s1, s15, s1
	s_load_dwordx2 s[6:7], s[0:1], 0x0
	s_load_dwordx2 s[10:11], s[4:5], 0x20
                                        ; implicit-def: $vgpr13
                                        ; implicit-def: $vgpr12
                                        ; implicit-def: $vgpr6
	s_waitcnt lgkmcnt(0)
	v_mad_u64_u32 v[1:2], s[0:1], s6, v7, v[1:2]
	s_mov_b32 s0, 0x18d3019
	v_mul_lo_u32 v3, s6, v8
	v_mul_lo_u32 v4, s7, v7
	v_mul_hi_u32 v5, v0, s0
	v_cmp_gt_u64_e32 vcc, s[10:11], v[7:8]
	v_cmp_le_u64_e64 s[0:1], s[10:11], v[7:8]
	v_add3_u32 v2, v4, v2, v3
	v_mul_u32_u24_e32 v3, 0xa5, v5
	v_sub_u32_e32 v11, v0, v3
                                        ; implicit-def: $sgpr6
	s_and_saveexec_b64 s[4:5], s[0:1]
	s_xor_b64 s[0:1], exec, s[4:5]
; %bb.10:
	v_add_u32_e32 v13, 0xa5, v11
	v_add_u32_e32 v12, 0x14a, v11
	;; [unrolled: 1-line block ×3, first 2 shown]
	s_mov_b32 s6, 0
; %bb.11:
	s_or_saveexec_b64 s[4:5], s[0:1]
	v_lshlrev_b64 v[0:1], 2, v[1:2]
	v_mov_b32_e32 v10, s6
	v_mov_b32_e32 v23, s6
                                        ; implicit-def: $vgpr26
                                        ; implicit-def: $vgpr24
                                        ; implicit-def: $vgpr21
                                        ; implicit-def: $vgpr19
                                        ; implicit-def: $vgpr17
                                        ; implicit-def: $vgpr15
                                        ; implicit-def: $vgpr9
                                        ; implicit-def: $vgpr7
                                        ; implicit-def: $vgpr4
                                        ; implicit-def: $vgpr2
                                        ; implicit-def: $vgpr27
                                        ; implicit-def: $vgpr25
                                        ; implicit-def: $vgpr22
                                        ; implicit-def: $vgpr20
                                        ; implicit-def: $vgpr18
                                        ; implicit-def: $vgpr16
                                        ; implicit-def: $vgpr14
                                        ; implicit-def: $vgpr8
                                        ; implicit-def: $vgpr5
                                        ; implicit-def: $vgpr3
	s_xor_b64 exec, exec, s[4:5]
	s_cbranch_execz .LBB0_13
; %bb.12:
	v_mad_u64_u32 v[2:3], s[0:1], s2, v11, 0
	v_add_u32_e32 v13, 0xa5, v11
	v_add_u32_e32 v12, 0x14a, v11
	v_mad_u64_u32 v[3:4], s[0:1], s3, v11, v[3:4]
	v_mad_u64_u32 v[4:5], s[0:1], s2, v13, 0
	v_mad_u64_u32 v[7:8], s[0:1], s2, v12, 0
	v_mad_u64_u32 v[5:6], s[0:1], s3, v13, v[5:6]
	v_mov_b32_e32 v9, s13
	v_add_co_u32_e64 v23, s[0:1], s12, v0
	v_mov_b32_e32 v6, v8
	v_addc_co_u32_e64 v40, s[0:1], v9, v1, s[0:1]
	v_mad_u64_u32 v[8:9], s[0:1], s3, v12, v[6:7]
	v_add_u32_e32 v6, 0x1ef, v11
	v_mad_u64_u32 v[9:10], s[0:1], s2, v6, 0
	v_lshlrev_b64 v[4:5], 2, v[4:5]
	v_add_u32_e32 v19, 0x294, v11
	v_add_co_u32_e64 v4, s[0:1], v23, v4
	v_addc_co_u32_e64 v5, s[0:1], v40, v5, s[0:1]
	v_mad_u64_u32 v[14:15], s[0:1], s3, v6, v[10:11]
	v_mad_u64_u32 v[15:16], s[0:1], s2, v19, 0
	v_lshlrev_b64 v[7:8], 2, v[7:8]
	v_mov_b32_e32 v10, v14
	v_add_co_u32_e64 v17, s[0:1], v23, v7
	v_addc_co_u32_e64 v18, s[0:1], v40, v8, s[0:1]
	v_lshlrev_b64 v[7:8], 2, v[9:10]
	v_mov_b32_e32 v9, v16
	v_mad_u64_u32 v[9:10], s[0:1], s3, v19, v[9:10]
	v_add_u32_e32 v10, 0x339, v11
	v_mad_u64_u32 v[19:20], s[0:1], s2, v10, 0
	v_add_co_u32_e64 v21, s[0:1], v23, v7
	v_mov_b32_e32 v16, v9
	v_mov_b32_e32 v9, v20
	v_addc_co_u32_e64 v22, s[0:1], v40, v8, s[0:1]
	v_mad_u64_u32 v[9:10], s[0:1], s3, v10, v[9:10]
	v_add_u32_e32 v10, 0x3de, v11
	v_lshlrev_b64 v[7:8], 2, v[15:16]
	v_mad_u64_u32 v[14:15], s[0:1], s2, v10, 0
	v_add_co_u32_e64 v26, s[0:1], v23, v7
	v_mov_b32_e32 v20, v9
	v_mov_b32_e32 v9, v15
	v_addc_co_u32_e64 v27, s[0:1], v40, v8, s[0:1]
	v_mad_u64_u32 v[9:10], s[0:1], s3, v10, v[9:10]
	v_add_u32_e32 v10, 0x483, v11
	v_lshlrev_b64 v[7:8], 2, v[19:20]
	;; [unrolled: 8-line block ×5, first 2 shown]
	v_mad_u64_u32 v[14:15], s[0:1], s2, v10, 0
	v_add_co_u32_e64 v34, s[0:1], v23, v7
	v_mov_b32_e32 v20, v9
	v_mov_b32_e32 v9, v15
	v_addc_co_u32_e64 v35, s[0:1], v40, v8, s[0:1]
	v_mad_u64_u32 v[9:10], s[0:1], s3, v10, v[9:10]
	v_lshlrev_b64 v[7:8], 2, v[19:20]
	v_lshlrev_b64 v[38:39], 2, v[2:3]
	v_add_co_u32_e64 v36, s[0:1], v23, v7
	v_mov_b32_e32 v15, v9
	v_addc_co_u32_e64 v37, s[0:1], v40, v8, s[0:1]
	v_lshlrev_b64 v[7:8], 2, v[14:15]
	v_add_co_u32_e64 v9, s[0:1], v23, v7
	v_addc_co_u32_e64 v10, s[0:1], v40, v8, s[0:1]
	global_load_dword v24, v[4:5], off
	global_load_dword v19, v[17:18], off
	;; [unrolled: 1-line block ×10, first 2 shown]
	v_add_co_u32_e64 v4, s[0:1], v23, v38
	v_addc_co_u32_e64 v5, s[0:1], v40, v39, s[0:1]
	global_load_dword v23, v[4:5], off
	v_mov_b32_e32 v10, v11
	s_waitcnt vmcnt(10)
	v_lshrrev_b32_e32 v26, 16, v24
	s_waitcnt vmcnt(9)
	v_lshrrev_b32_e32 v21, 16, v19
	;; [unrolled: 2-line block ×10, first 2 shown]
.LBB0_13:
	s_or_b64 exec, exec, s[4:5]
	s_waitcnt vmcnt(0)
	v_add_f16_e32 v28, v24, v23
	v_add_f16_sdwa v29, v26, v23 dst_sel:DWORD dst_unused:UNUSED_PAD src0_sel:DWORD src1_sel:WORD_1
	v_add_f16_e32 v28, v19, v28
	v_add_f16_e32 v29, v21, v29
	v_add_f16_e32 v28, v15, v28
	v_add_f16_e32 v29, v17, v29
	v_add_f16_e32 v28, v7, v28
	v_add_f16_e32 v29, v9, v29
	v_add_f16_e32 v28, v2, v28
	v_add_f16_e32 v29, v4, v29
	v_add_f16_e32 v28, v3, v28
	v_add_f16_e32 v29, v5, v29
	v_add_f16_e32 v28, v8, v28
	v_add_f16_e32 v29, v14, v29
	v_add_f16_e32 v28, v16, v28
	v_add_f16_e32 v29, v18, v29
	v_add_f16_e32 v28, v20, v28
	v_add_f16_e32 v29, v22, v29
	v_add_f16_e32 v28, v25, v28
	v_add_f16_sdwa v29, v27, v29 dst_sel:WORD_1 dst_unused:UNUSED_PAD src0_sel:DWORD src1_sel:DWORD
	v_or_b32_e32 v28, v29, v28
	v_add_f16_e32 v29, v24, v25
	v_add_f16_e32 v30, v26, v27
	v_sub_f16_e32 v24, v24, v25
	v_sub_f16_e32 v25, v26, v27
	v_mul_f16_e32 v26, 0x3abb, v29
	s_movk_i32 s4, 0x3853
	s_mov_b32 s7, 0xb853
	v_mul_f16_e32 v31, 0x36a6, v29
	s_movk_i32 s0, 0x3b47
	s_mov_b32 s5, 0xbb47
	;; [unrolled: 3-line block ×3, first 2 shown]
	s_movk_i32 s11, 0x3a0c
	s_mov_b32 s10, 0xba0c
	v_mul_f16_e32 v35, 0xb93d, v29
	v_mul_f16_e32 v29, 0xbbad, v29
	s_movk_i32 s19, 0x3482
	s_mov_b32 s18, 0xb482
	v_fma_f16 v27, v25, s4, v26
	v_fma_f16 v26, v25, s7, v26
	;; [unrolled: 1-line block ×10, first 2 shown]
	s_movk_i32 s16, 0x3abb
	v_mul_f16_e32 v29, 0xb853, v24
	s_movk_i32 s15, 0x36a6
	v_mul_f16_e32 v39, 0xbb47, v24
	s_mov_b32 s14, 0xb08e
	v_mul_f16_e32 v41, 0xbbeb, v24
	s_mov_b32 s17, 0xb93d
	;; [unrolled: 2-line block ×3, first 2 shown]
	v_mul_f16_e32 v24, 0xb482, v24
	v_fma_f16 v38, v30, s16, v29
	v_fma_f16 v29, v30, s16, -v29
	v_fma_f16 v40, v30, s15, v39
	v_fma_f16 v39, v30, s15, -v39
	v_fma_f16 v42, v30, s14, v41
	v_fma_f16 v41, v30, s14, -v41
	v_fma_f16 v44, v30, s17, v43
	v_fma_f16 v43, v30, s17, -v43
	v_fma_f16 v45, v30, s20, v24
	v_fma_f16 v24, v30, s20, -v24
	v_add_f16_e32 v27, v27, v23
	v_add_f16_sdwa v30, v38, v23 dst_sel:DWORD dst_unused:UNUSED_PAD src0_sel:DWORD src1_sel:WORD_1
	v_add_f16_e32 v26, v26, v23
	v_add_f16_sdwa v29, v29, v23 dst_sel:DWORD dst_unused:UNUSED_PAD src0_sel:DWORD src1_sel:WORD_1
	;; [unrolled: 2-line block ×10, first 2 shown]
	v_add_f16_e32 v24, v19, v20
	v_sub_f16_e32 v19, v19, v20
	v_add_f16_e32 v20, v21, v22
	v_sub_f16_e32 v21, v21, v22
	v_mul_f16_e32 v22, 0x36a6, v24
	v_fma_f16 v45, v21, s0, v22
	v_add_f16_e32 v27, v45, v27
	v_mul_f16_e32 v45, 0xbb47, v19
	v_fma_f16 v22, v21, s5, v22
	v_add_f16_e32 v22, v22, v26
	v_fma_f16 v26, v20, s15, -v45
	v_add_f16_e32 v26, v26, v29
	v_mul_f16_e32 v29, 0xb93d, v24
	v_fma_f16 v46, v20, s15, v45
	v_fma_f16 v45, v21, s11, v29
	v_add_f16_e32 v32, v45, v32
	v_mul_f16_e32 v45, 0xba0c, v19
	v_fma_f16 v29, v21, s10, v29
	v_add_f16_e32 v29, v29, v31
	v_fma_f16 v31, v20, s17, -v45
	v_add_f16_e32 v31, v31, v39
	v_mul_f16_e32 v39, 0xbbad, v24
	v_add_f16_e32 v30, v46, v30
	v_fma_f16 v46, v20, s17, v45
	v_fma_f16 v45, v21, s18, v39
	v_add_f16_e32 v34, v45, v34
	v_mul_f16_e32 v45, 0x3482, v19
	v_fma_f16 v39, v21, s19, v39
	v_add_f16_e32 v33, v39, v33
	v_fma_f16 v39, v20, s20, -v45
	v_add_f16_e32 v39, v39, v41
	v_mul_f16_e32 v41, 0xb08e, v24
	v_add_f16_e32 v38, v46, v38
	v_fma_f16 v46, v20, s20, v45
	v_fma_f16 v45, v21, s1, v41
	v_add_f16_e32 v36, v45, v36
	v_mul_f16_e32 v45, 0x3beb, v19
	v_fma_f16 v41, v21, s6, v41
	v_add_f16_e32 v35, v41, v35
	v_fma_f16 v41, v20, s14, -v45
	v_mul_f16_e32 v24, 0x3abb, v24
	v_add_f16_e32 v41, v41, v43
	v_fma_f16 v43, v21, s7, v24
	v_mul_f16_e32 v19, 0x3853, v19
	v_add_f16_e32 v40, v46, v40
	v_fma_f16 v46, v20, s14, v45
	v_add_f16_e32 v37, v43, v37
	v_fma_f16 v43, v20, s16, v19
	v_fma_f16 v19, v20, s16, -v19
	v_add_f16_e32 v20, v15, v16
	v_sub_f16_e32 v15, v15, v16
	v_add_f16_e32 v16, v17, v18
	v_sub_f16_e32 v17, v17, v18
	v_mul_f16_e32 v18, 0xb08e, v20
	v_fma_f16 v21, v21, s4, v24
	v_add_f16_e32 v19, v19, v23
	v_fma_f16 v23, v17, s6, v18
	v_mul_f16_e32 v24, 0xbbeb, v15
	v_fma_f16 v18, v17, s1, v18
	v_add_f16_e32 v21, v21, v25
	v_fma_f16 v25, v16, s14, v24
	v_add_f16_e32 v18, v18, v22
	v_fma_f16 v22, v16, s14, -v24
	v_mul_f16_e32 v24, 0xbbad, v20
	v_add_f16_e32 v23, v23, v27
	v_add_f16_e32 v22, v22, v26
	v_fma_f16 v26, v17, s18, v24
	v_mul_f16_e32 v27, 0x3482, v15
	v_fma_f16 v24, v17, s19, v24
	v_add_f16_e32 v25, v25, v30
	v_fma_f16 v30, v16, s20, v27
	v_add_f16_e32 v24, v24, v29
	v_fma_f16 v27, v16, s20, -v27
	v_mul_f16_e32 v29, 0x36a6, v20
	v_add_f16_e32 v27, v27, v31
	v_fma_f16 v31, v17, s5, v29
	v_fma_f16 v29, v17, s0, v29
	v_add_f16_e32 v29, v29, v33
	v_mul_f16_e32 v33, 0x3abb, v20
	v_add_f16_e32 v26, v26, v32
	v_add_f16_e32 v30, v30, v38
	v_mul_f16_e32 v32, 0x3b47, v15
	v_fma_f16 v38, v17, s4, v33
	v_add_f16_e32 v31, v31, v34
	v_fma_f16 v34, v16, s15, v32
	v_fma_f16 v32, v16, s15, -v32
	v_add_f16_e32 v36, v38, v36
	v_mul_f16_e32 v38, 0xb853, v15
	v_fma_f16 v33, v17, s7, v33
	v_mul_f16_e32 v20, 0xb93d, v20
	v_add_f16_e32 v32, v32, v39
	v_fma_f16 v39, v16, s16, v38
	v_add_f16_e32 v33, v33, v35
	v_fma_f16 v35, v16, s16, -v38
	v_fma_f16 v38, v17, s11, v20
	v_mul_f16_e32 v15, 0xba0c, v15
	v_add_f16_e32 v37, v38, v37
	v_fma_f16 v38, v16, s17, v15
	v_fma_f16 v15, v16, s17, -v15
	v_add_f16_e32 v16, v7, v8
	v_sub_f16_e32 v7, v7, v8
	v_add_f16_e32 v8, v9, v14
	v_sub_f16_e32 v9, v9, v14
	v_mul_f16_e32 v14, 0xb93d, v16
	v_fma_f16 v17, v17, s10, v20
	v_add_f16_e32 v15, v15, v19
	v_fma_f16 v19, v9, s11, v14
	v_mul_f16_e32 v20, 0xba0c, v7
	v_fma_f16 v14, v9, s10, v14
	v_add_f16_e32 v17, v17, v21
	v_fma_f16 v21, v8, s17, v20
	v_add_f16_e32 v14, v14, v18
	v_fma_f16 v18, v8, s17, -v20
	v_mul_f16_e32 v20, 0xb08e, v16
	v_add_f16_e32 v18, v18, v22
	v_fma_f16 v22, v9, s1, v20
	v_fma_f16 v20, v9, s6, v20
	v_add_f16_e32 v19, v19, v23
	v_mul_f16_e32 v23, 0x3beb, v7
	v_add_f16_e32 v20, v20, v24
	v_mul_f16_e32 v24, 0x3abb, v16
	v_add_f16_e32 v21, v21, v25
	v_add_f16_e32 v22, v22, v26
	v_fma_f16 v25, v8, s14, v23
	v_fma_f16 v23, v8, s14, -v23
	v_fma_f16 v26, v9, s4, v24
	v_fma_f16 v24, v9, s7, v24
	v_add_f16_e32 v23, v23, v27
	v_mul_f16_e32 v27, 0xb853, v7
	v_add_f16_e32 v24, v24, v29
	v_mul_f16_e32 v29, 0xbbad, v16
	v_add_f16_e32 v25, v25, v30
	v_add_f16_e32 v26, v26, v31
	v_fma_f16 v30, v8, s16, v27
	v_fma_f16 v27, v8, s16, -v27
	v_fma_f16 v31, v9, s19, v29
	v_fma_f16 v29, v9, s18, v29
	v_mul_f16_e32 v16, 0x36a6, v16
	v_add_f16_e32 v34, v34, v40
	v_add_f16_e32 v27, v27, v32
	v_mul_f16_e32 v32, 0xb482, v7
	v_add_f16_e32 v29, v29, v33
	v_fma_f16 v33, v9, s5, v16
	v_fma_f16 v9, v9, s0, v16
	v_add_f16_e32 v35, v35, v41
	v_add_f16_e32 v30, v30, v34
	v_fma_f16 v34, v8, s20, v32
	v_fma_f16 v32, v8, s20, -v32
	v_mul_f16_e32 v7, 0x3b47, v7
	v_add_f16_e32 v16, v9, v17
	v_add_f16_e32 v17, v2, v3
	;; [unrolled: 1-line block ×4, first 2 shown]
	v_fma_f16 v35, v8, s15, v7
	v_fma_f16 v7, v8, s15, -v7
	v_add_f16_e32 v36, v4, v5
	v_sub_f16_e32 v2, v2, v3
	v_sub_f16_e32 v3, v4, v5
	v_mul_f16_e32 v4, 0xbbad, v17
	v_add_f16_e32 v15, v7, v15
	v_fma_f16 v5, v3, s19, v4
	v_mul_f16_e32 v7, 0xb482, v2
	v_fma_f16 v4, v3, s18, v4
	v_add_f16_e32 v9, v4, v14
	v_fma_f16 v4, v36, s20, -v7
	v_fma_f16 v8, v36, s20, v7
	v_add_f16_e32 v18, v4, v18
	v_mul_f16_e32 v4, 0x3abb, v17
	v_add_f16_e32 v5, v5, v19
	v_add_f16_e32 v19, v8, v21
	v_fma_f16 v7, v3, s7, v4
	v_mul_f16_e32 v8, 0x3853, v2
	v_add_f16_e32 v14, v7, v22
	v_fma_f16 v7, v36, s16, v8
	v_fma_f16 v4, v3, s4, v4
	v_add_f16_e32 v21, v7, v25
	v_add_f16_e32 v7, v4, v20
	v_fma_f16 v4, v36, s16, -v8
	v_add_f16_e32 v8, v4, v23
	v_mul_f16_e32 v4, 0xb93d, v17
	v_fma_f16 v20, v3, s11, v4
	v_fma_f16 v4, v3, s10, v4
	v_add_f16_e32 v43, v43, v44
	v_mul_f16_e32 v22, 0xba0c, v2
	v_add_f16_e32 v4, v4, v24
	v_mul_f16_e32 v24, 0x36a6, v17
	v_add_f16_e32 v38, v38, v43
	v_add_f16_e32 v20, v20, v26
	v_fma_f16 v23, v36, s17, v22
	v_fma_f16 v25, v3, s5, v24
	v_mul_f16_e32 v26, 0x3b47, v2
	v_fma_f16 v24, v3, s0, v24
	v_mul_f16_e32 v17, 0xb08e, v17
	v_mul_f16_e32 v2, 0xbbeb, v2
	v_add_f16_e32 v33, v33, v37
	v_add_f16_e32 v35, v35, v38
	;; [unrolled: 1-line block ×3, first 2 shown]
	v_fma_f16 v22, v36, s17, -v22
	v_add_f16_e32 v24, v24, v29
	v_fma_f16 v29, v3, s6, v17
	v_fma_f16 v30, v36, s14, v2
	;; [unrolled: 1-line block ×3, first 2 shown]
	v_fma_f16 v2, v36, s14, -v2
	v_add_f16_e32 v42, v46, v42
	v_add_f16_e32 v22, v22, v27
	v_fma_f16 v27, v36, s15, v26
	v_fma_f16 v26, v36, s15, -v26
	v_add_f16_e32 v29, v29, v33
	v_add_f16_e32 v30, v30, v35
	;; [unrolled: 1-line block ×6, first 2 shown]
	v_mad_u32_u24 v17, v11, 44, 0
	v_pack_b32_f16 v2, v3, v2
	v_pack_b32_f16 v3, v29, v30
	v_add_f16_e32 v34, v34, v39
	ds_write2_b32 v17, v3, v2 offset0:5 offset1:6
	v_pack_b32_f16 v2, v4, v22
	v_pack_b32_f16 v3, v24, v26
	s_movk_i32 s0, 0xffd8
	v_add_f16_e32 v25, v25, v31
	v_add_f16_e32 v27, v27, v34
	v_pack_b32_f16 v14, v14, v21
	v_pack_b32_f16 v5, v5, v19
	ds_write2_b32 v17, v3, v2 offset0:7 offset1:8
	v_pack_b32_f16 v2, v9, v18
	v_pack_b32_f16 v3, v7, v8
	v_mad_i32_i24 v19, v11, s0, v17
	ds_write2_b32 v17, v5, v14 offset0:1 offset1:2
	v_pack_b32_f16 v5, v25, v27
	v_pack_b32_f16 v14, v20, v23
	ds_write2_b32 v17, v3, v2 offset0:9 offset1:10
	v_add_u32_e32 v2, 0x900, v19
	v_add_u32_e32 v4, 0x1200, v19
	v_lshl_add_u32 v15, v13, 2, 0
	ds_write_b32 v17, v28
	ds_write2_b32 v17, v14, v5 offset0:3 offset1:4
	s_waitcnt lgkmcnt(0)
	s_barrier
	ds_read2_b32 v[2:3], v2 offset0:29 offset1:194
	ds_read2_b32 v[4:5], v4 offset0:58 offset1:223
	ds_read_b32 v20, v15
	v_lshl_add_u32 v16, v12, 2, 0
	ds_read_b32 v22, v19 offset:6160
	ds_read_b32 v23, v19 offset:3740
	ds_read_b32 v21, v19
	ds_read_b32 v19, v16
	v_mul_i32_i24_e32 v14, 0xffffffd8, v11
	s_movk_i32 s0, 0x6e
	v_cmp_gt_u32_e64 s[0:1], s0, v11
	v_add_u32_e32 v14, v17, v14
	v_lshl_add_u32 v17, v6, 2, 0
                                        ; implicit-def: $vgpr26
                                        ; implicit-def: $vgpr25
	s_and_saveexec_b64 s[4:5], s[0:1]
	s_cbranch_execz .LBB0_15
; %bb.14:
	ds_read_b32 v7, v17
	ds_read_b32 v25, v14 offset:6820
	ds_read_b32 v9, v14 offset:4400
	s_waitcnt lgkmcnt(2)
	v_lshrrev_b32_e32 v8, 16, v7
	s_waitcnt lgkmcnt(1)
	v_lshrrev_b32_e32 v26, 16, v25
	;; [unrolled: 2-line block ×3, first 2 shown]
.LBB0_15:
	s_or_b64 exec, exec, s[4:5]
	s_movk_i32 s4, 0x75
	v_mul_lo_u16_sdwa v24, v11, s4 dst_sel:DWORD dst_unused:UNUSED_PAD src0_sel:BYTE_0 src1_sel:DWORD
	v_sub_u16_sdwa v27, v11, v24 dst_sel:DWORD dst_unused:UNUSED_PAD src0_sel:DWORD src1_sel:BYTE_1
	v_lshrrev_b16_e32 v27, 1, v27
	v_and_b32_e32 v27, 0x7f, v27
	s_mov_b32 s4, 0xba2f
	v_add_u16_sdwa v24, v27, v24 dst_sel:DWORD dst_unused:UNUSED_PAD src0_sel:DWORD src1_sel:BYTE_1
	v_mul_u32_u24_sdwa v27, v13, s4 dst_sel:DWORD dst_unused:UNUSED_PAD src0_sel:WORD_0 src1_sel:DWORD
	v_lshrrev_b16_e32 v35, 3, v24
	v_lshrrev_b32_e32 v37, 19, v27
	v_mul_lo_u16_e32 v24, 11, v35
	v_mul_lo_u16_e32 v27, 11, v37
	v_sub_u16_e32 v36, v11, v24
	v_mov_b32_e32 v24, 3
	v_sub_u16_e32 v38, v13, v27
	v_mul_u32_u24_sdwa v30, v12, s4 dst_sel:DWORD dst_unused:UNUSED_PAD src0_sel:WORD_0 src1_sel:DWORD
	v_lshlrev_b32_sdwa v24, v24, v36 dst_sel:DWORD dst_unused:UNUSED_PAD src0_sel:DWORD src1_sel:BYTE_0
	v_lshlrev_b32_e32 v29, 3, v38
	v_lshrrev_b32_e32 v39, 19, v30
	global_load_dwordx2 v[27:28], v24, s[8:9]
	s_waitcnt lgkmcnt(6)
	v_lshrrev_b32_e32 v44, 16, v2
	global_load_dwordx2 v[29:30], v29, s[8:9]
	v_mul_lo_u16_e32 v24, 11, v39
	v_sub_u16_e32 v40, v12, v24
	v_mul_u32_u24_sdwa v24, v6, s4 dst_sel:DWORD dst_unused:UNUSED_PAD src0_sel:WORD_0 src1_sel:DWORD
	v_lshrrev_b32_e32 v24, 19, v24
	v_mul_lo_u16_e32 v33, 11, v24
	v_sub_u16_e32 v6, v6, v33
	v_lshlrev_b32_e32 v31, 3, v40
	v_lshlrev_b32_e32 v33, 3, v6
	global_load_dwordx2 v[31:32], v31, s[8:9]
	s_waitcnt lgkmcnt(5)
	v_lshrrev_b32_e32 v45, 16, v4
	global_load_dwordx2 v[33:34], v33, s[8:9]
	v_lshrrev_b32_e32 v46, 16, v3
	v_lshrrev_b32_e32 v47, 16, v5
	s_waitcnt lgkmcnt(1)
	v_lshrrev_b32_e32 v41, 16, v21
	v_lshrrev_b32_e32 v42, 16, v20
	s_movk_i32 s4, 0x3aee
	s_mov_b32 s5, 0xbaee
	v_lshrrev_b32_e32 v48, 16, v23
	v_lshrrev_b32_e32 v49, 16, v22
	s_waitcnt lgkmcnt(0)
	v_lshrrev_b32_e32 v43, 16, v19
	s_waitcnt vmcnt(0)
	s_barrier
	v_mul_f16_sdwa v50, v27, v44 dst_sel:DWORD dst_unused:UNUSED_PAD src0_sel:WORD_1 src1_sel:DWORD
	v_mul_f16_sdwa v51, v27, v2 dst_sel:DWORD dst_unused:UNUSED_PAD src0_sel:WORD_1 src1_sel:DWORD
	;; [unrolled: 1-line block ×4, first 2 shown]
	v_fma_f16 v44, v27, v44, v51
	v_fma_f16 v45, v28, v45, v52
	v_fma_f16 v27, v27, v2, -v50
	v_fma_f16 v28, v28, v4, -v53
	v_mul_f16_sdwa v54, v29, v46 dst_sel:DWORD dst_unused:UNUSED_PAD src0_sel:WORD_1 src1_sel:DWORD
	v_mul_f16_sdwa v55, v29, v3 dst_sel:DWORD dst_unused:UNUSED_PAD src0_sel:WORD_1 src1_sel:DWORD
	;; [unrolled: 1-line block ×4, first 2 shown]
	v_fma_f16 v50, v29, v3, -v54
	v_mul_f16_sdwa v63, v9, v33 dst_sel:DWORD dst_unused:UNUSED_PAD src0_sel:DWORD src1_sel:WORD_1
	v_mul_f16_sdwa v62, v18, v33 dst_sel:DWORD dst_unused:UNUSED_PAD src0_sel:DWORD src1_sel:WORD_1
	;; [unrolled: 1-line block ×3, first 2 shown]
	v_fma_f16 v4, v18, v33, v63
	v_add_f16_e32 v18, v27, v28
	v_mul_f16_sdwa v65, v25, v34 dst_sel:DWORD dst_unused:UNUSED_PAD src0_sel:DWORD src1_sel:WORD_1
	v_fma_f16 v51, v30, v5, -v56
	v_fma_f16 v29, v29, v46, v55
	v_fma_f16 v2, v9, v33, -v62
	v_fma_f16 v3, v25, v34, -v64
	v_sub_f16_e32 v25, v44, v45
	v_add_f16_e32 v33, v44, v45
	v_fma_f16 v18, v18, -0.5, v21
	v_fma_f16 v30, v30, v47, v57
	v_fma_f16 v5, v26, v34, v65
	v_add_f16_e32 v9, v21, v27
	v_add_f16_e32 v26, v41, v44
	;; [unrolled: 1-line block ×3, first 2 shown]
	v_fma_f16 v21, v33, -0.5, v41
	v_fma_f16 v33, v25, s4, v18
	v_fma_f16 v25, v25, s5, v18
	v_add_f16_e32 v18, v42, v29
	v_mul_f16_sdwa v58, v31, v48 dst_sel:DWORD dst_unused:UNUSED_PAD src0_sel:WORD_1 src1_sel:DWORD
	v_add_f16_e32 v34, v20, v50
	v_sub_f16_e32 v46, v29, v30
	v_add_f16_e32 v26, v26, v45
	v_fma_f16 v20, v44, -0.5, v20
	v_add_f16_e32 v45, v18, v30
	v_add_f16_e32 v18, v29, v30
	v_mul_f16_sdwa v59, v31, v23 dst_sel:DWORD dst_unused:UNUSED_PAD src0_sel:WORD_1 src1_sel:DWORD
	v_mul_f16_sdwa v60, v32, v49 dst_sel:DWORD dst_unused:UNUSED_PAD src0_sel:WORD_1 src1_sel:DWORD
	v_fma_f16 v23, v31, v23, -v58
	v_fma_f16 v41, v46, s4, v20
	v_fma_f16 v44, v46, s5, v20
	v_fma_f16 v18, v18, -0.5, v42
	v_sub_f16_e32 v20, v50, v51
	v_mul_f16_sdwa v61, v32, v22 dst_sel:DWORD dst_unused:UNUSED_PAD src0_sel:WORD_1 src1_sel:DWORD
	v_fma_f16 v22, v32, v22, -v60
	v_fma_f16 v29, v20, s5, v18
	v_fma_f16 v30, v20, s4, v18
	v_add_f16_e32 v18, v19, v23
	v_fma_f16 v31, v31, v48, v59
	v_fma_f16 v32, v32, v49, v61
	v_add_f16_e32 v42, v18, v22
	v_add_f16_e32 v18, v23, v22
	v_fma_f16 v18, v18, -0.5, v19
	v_sub_f16_e32 v19, v31, v32
	v_fma_f16 v46, v19, s4, v18
	v_fma_f16 v47, v19, s5, v18
	v_add_f16_e32 v18, v43, v31
	v_add_f16_e32 v48, v18, v32
	v_add_f16_e32 v18, v31, v32
	v_fma_f16 v18, v18, -0.5, v43
	v_sub_f16_e32 v19, v23, v22
	v_fma_f16 v22, v19, s5, v18
	v_fma_f16 v23, v19, s4, v18
	v_add_f16_e32 v18, v2, v3
	v_fma_f16 v19, v18, -0.5, v7
	v_sub_f16_e32 v20, v4, v5
	v_sub_f16_e32 v27, v27, v28
	v_fma_f16 v18, v20, s4, v19
	v_fma_f16 v20, v20, s5, v19
	v_add_f16_e32 v19, v4, v5
	v_add_f16_e32 v9, v9, v28
	;; [unrolled: 1-line block ×3, first 2 shown]
	v_fma_f16 v34, v27, s5, v21
	v_fma_f16 v27, v27, s4, v21
	v_fma_f16 v21, v19, -0.5, v8
	v_sub_f16_e32 v31, v2, v3
	v_mov_b32_e32 v32, 2
	v_fma_f16 v19, v31, s5, v21
	v_fma_f16 v21, v31, s4, v21
	v_mul_u32_u24_e32 v31, 0x84, v35
	v_lshlrev_b32_sdwa v32, v32, v36 dst_sel:DWORD dst_unused:UNUSED_PAD src0_sel:DWORD src1_sel:BYTE_0
	v_add3_u32 v31, 0, v31, v32
	v_pack_b32_f16 v9, v9, v26
	v_pack_b32_f16 v26, v33, v34
	ds_write2_b32 v31, v9, v26 offset1:11
	v_pack_b32_f16 v9, v25, v27
	ds_write_b32 v31, v9 offset:88
	v_mul_u32_u24_e32 v9, 0x84, v37
	v_lshlrev_b32_e32 v25, 2, v38
	v_add3_u32 v9, 0, v9, v25
	v_pack_b32_f16 v25, v28, v45
	v_pack_b32_f16 v26, v41, v29
	ds_write2_b32 v9, v25, v26 offset1:11
	v_pack_b32_f16 v25, v44, v30
	ds_write_b32 v9, v25 offset:88
	v_mul_u32_u24_e32 v9, 0x84, v39
	v_lshlrev_b32_e32 v25, 2, v40
	v_add3_u32 v9, 0, v9, v25
	v_pack_b32_f16 v25, v42, v48
	v_pack_b32_f16 v22, v46, v22
	ds_write2_b32 v9, v25, v22 offset1:11
	v_pack_b32_f16 v22, v47, v23
	ds_write_b32 v9, v22 offset:88
	s_and_saveexec_b64 s[4:5], s[0:1]
	s_cbranch_execz .LBB0_17
; %bb.16:
	v_add_f16_e32 v2, v7, v2
	v_add_f16_e32 v4, v8, v4
	v_add_f16_e32 v2, v2, v3
	v_mul_lo_u16_e32 v3, 33, v24
	v_add_f16_e32 v4, v4, v5
	v_lshlrev_b32_e32 v5, 2, v6
	v_lshlrev_b32_e32 v3, 2, v3
	s_mov_b32 s0, 0x5040100
	v_add3_u32 v3, 0, v5, v3
	v_pack_b32_f16 v2, v2, v4
	v_perm_b32 v4, v19, v18, s0
	ds_write2_b32 v3, v2, v4 offset1:11
	v_perm_b32 v2, v21, v20, s0
	ds_write_b32 v3, v2 offset:88
.LBB0_17:
	s_or_b64 exec, exec, s[4:5]
	v_add_u32_e32 v2, 0x500, v14
	v_add_u32_e32 v4, 0xa00, v14
	;; [unrolled: 1-line block ×4, first 2 shown]
	s_waitcnt lgkmcnt(0)
	s_barrier
	ds_read2_b32 v[2:3], v2 offset0:43 offset1:208
	ds_read2_b32 v[4:5], v4 offset0:86 offset1:251
	;; [unrolled: 1-line block ×4, first 2 shown]
	ds_read_b32 v29, v14
	ds_read_b32 v28, v15
	v_cmp_gt_u32_e64 s[0:1], 33, v11
                                        ; implicit-def: $vgpr25
                                        ; implicit-def: $vgpr24
                                        ; implicit-def: $vgpr26
                                        ; implicit-def: $vgpr23
                                        ; implicit-def: $vgpr27
                                        ; implicit-def: $vgpr22
	s_and_saveexec_b64 s[4:5], s[0:1]
	s_cbranch_execz .LBB0_19
; %bb.18:
	ds_read_b32 v18, v16
	ds_read_b32 v20, v14 offset:2772
	ds_read_b32 v22, v14 offset:4224
	;; [unrolled: 1-line block ×4, first 2 shown]
	s_waitcnt lgkmcnt(4)
	v_lshrrev_b32_e32 v19, 16, v18
	s_waitcnt lgkmcnt(3)
	v_lshrrev_b32_e32 v21, 16, v20
	;; [unrolled: 2-line block ×5, first 2 shown]
.LBB0_19:
	s_or_b64 exec, exec, s[4:5]
	s_movk_i32 s4, 0xf9
	v_mul_lo_u16_sdwa v30, v11, s4 dst_sel:DWORD dst_unused:UNUSED_PAD src0_sel:BYTE_0 src1_sel:DWORD
	v_lshrrev_b16_e32 v44, 13, v30
	v_mul_lo_u16_e32 v30, 33, v44
	v_sub_u16_e32 v30, v11, v30
	v_mov_b32_e32 v31, 2
	v_lshlrev_b32_sdwa v45, v31, v30 dst_sel:DWORD dst_unused:UNUSED_PAD src0_sel:DWORD src1_sel:BYTE_0
	v_mov_b32_e32 v31, 4
	v_lshlrev_b32_sdwa v30, v31, v30 dst_sel:DWORD dst_unused:UNUSED_PAD src0_sel:DWORD src1_sel:BYTE_0
	global_load_dwordx4 v[30:33], v30, s[8:9] offset:88
	s_waitcnt lgkmcnt(5)
	v_lshrrev_b32_e32 v36, 16, v2
	s_waitcnt lgkmcnt(4)
	v_lshrrev_b32_e32 v37, 16, v4
	;; [unrolled: 2-line block ×4, first 2 shown]
	s_mov_b32 s15, 0xf83f
	v_lshrrev_b32_e32 v40, 16, v3
	v_lshrrev_b32_e32 v41, 16, v5
	;; [unrolled: 1-line block ×4, first 2 shown]
	s_movk_i32 s10, 0x3b9c
	s_mov_b32 s14, 0xbb9c
	s_movk_i32 s6, 0x38b4
	s_mov_b32 s11, 0xb8b4
	s_movk_i32 s7, 0x34f2
	s_waitcnt lgkmcnt(1)
	v_lshrrev_b32_e32 v34, 16, v29
	s_waitcnt lgkmcnt(0)
	v_lshrrev_b32_e32 v35, 16, v28
	s_waitcnt vmcnt(0)
	v_mul_f16_sdwa v46, v30, v36 dst_sel:DWORD dst_unused:UNUSED_PAD src0_sel:WORD_1 src1_sel:DWORD
	v_fma_f16 v46, v30, v2, -v46
	v_mul_f16_sdwa v2, v30, v2 dst_sel:DWORD dst_unused:UNUSED_PAD src0_sel:WORD_1 src1_sel:DWORD
	v_fma_f16 v2, v30, v36, v2
	v_mul_f16_sdwa v30, v31, v37 dst_sel:DWORD dst_unused:UNUSED_PAD src0_sel:WORD_1 src1_sel:DWORD
	v_fma_f16 v36, v31, v4, -v30
	v_mul_f16_sdwa v4, v31, v4 dst_sel:DWORD dst_unused:UNUSED_PAD src0_sel:WORD_1 src1_sel:DWORD
	v_mul_f16_sdwa v30, v32, v38 dst_sel:DWORD dst_unused:UNUSED_PAD src0_sel:WORD_1 src1_sel:DWORD
	v_fma_f16 v4, v31, v37, v4
	v_fma_f16 v37, v32, v6, -v30
	v_mul_f16_sdwa v6, v32, v6 dst_sel:DWORD dst_unused:UNUSED_PAD src0_sel:WORD_1 src1_sel:DWORD
	v_mul_f16_sdwa v30, v33, v39 dst_sel:DWORD dst_unused:UNUSED_PAD src0_sel:WORD_1 src1_sel:DWORD
	v_fma_f16 v6, v32, v38, v6
	v_fma_f16 v38, v33, v8, -v30
	v_mul_f16_sdwa v8, v33, v8 dst_sel:DWORD dst_unused:UNUSED_PAD src0_sel:WORD_1 src1_sel:DWORD
	v_mul_u32_u24_sdwa v30, v13, s15 dst_sel:DWORD dst_unused:UNUSED_PAD src0_sel:WORD_0 src1_sel:DWORD
	v_fma_f16 v8, v33, v39, v8
	v_lshrrev_b32_e32 v39, 21, v30
	v_mul_lo_u16_e32 v30, 33, v39
	v_sub_u16_e32 v13, v13, v30
	v_lshlrev_b32_e32 v47, 2, v13
	v_lshlrev_b32_e32 v13, 4, v13
	global_load_dwordx4 v[30:33], v13, s[8:9] offset:88
	v_sub_f16_e32 v48, v46, v36
	v_sub_f16_e32 v49, v38, v37
	v_add_f16_e32 v48, v48, v49
	v_sub_f16_e32 v49, v36, v46
	v_sub_f16_e32 v50, v37, v38
	v_add_f16_e32 v49, v49, v50
	s_waitcnt vmcnt(0)
	s_barrier
	v_mul_f16_sdwa v13, v30, v40 dst_sel:DWORD dst_unused:UNUSED_PAD src0_sel:WORD_1 src1_sel:DWORD
	v_fma_f16 v13, v30, v3, -v13
	v_mul_f16_sdwa v3, v30, v3 dst_sel:DWORD dst_unused:UNUSED_PAD src0_sel:WORD_1 src1_sel:DWORD
	v_fma_f16 v3, v30, v40, v3
	v_mul_f16_sdwa v30, v31, v41 dst_sel:DWORD dst_unused:UNUSED_PAD src0_sel:WORD_1 src1_sel:DWORD
	v_fma_f16 v30, v31, v5, -v30
	v_mul_f16_sdwa v5, v31, v5 dst_sel:DWORD dst_unused:UNUSED_PAD src0_sel:WORD_1 src1_sel:DWORD
	v_fma_f16 v5, v31, v41, v5
	;; [unrolled: 4-line block ×3, first 2 shown]
	v_mul_f16_sdwa v32, v33, v43 dst_sel:DWORD dst_unused:UNUSED_PAD src0_sel:WORD_1 src1_sel:DWORD
	v_add_f16_e32 v40, v36, v37
	v_fma_f16 v32, v33, v9, -v32
	v_mul_f16_sdwa v9, v33, v9 dst_sel:DWORD dst_unused:UNUSED_PAD src0_sel:WORD_1 src1_sel:DWORD
	v_fma_f16 v40, v40, -0.5, v29
	v_sub_f16_e32 v41, v2, v8
	v_fma_f16 v9, v33, v43, v9
	v_fma_f16 v42, v41, s10, v40
	v_sub_f16_e32 v43, v4, v6
	v_fma_f16 v40, v41, s14, v40
	v_fma_f16 v42, v43, s6, v42
	;; [unrolled: 1-line block ×3, first 2 shown]
	v_add_f16_e32 v33, v29, v46
	v_fma_f16 v42, v48, s7, v42
	v_fma_f16 v40, v48, s7, v40
	v_add_f16_e32 v48, v46, v38
	v_add_f16_e32 v33, v33, v36
	v_fma_f16 v29, v48, -0.5, v29
	v_add_f16_e32 v33, v33, v37
	v_fma_f16 v48, v43, s14, v29
	v_fma_f16 v29, v43, s10, v29
	v_add_f16_e32 v43, v4, v6
	v_add_f16_e32 v33, v33, v38
	v_fma_f16 v43, v43, -0.5, v34
	v_sub_f16_e32 v38, v46, v38
	v_fma_f16 v48, v41, s6, v48
	v_fma_f16 v29, v41, s11, v29
	v_fma_f16 v46, v38, s14, v43
	v_sub_f16_e32 v36, v36, v37
	v_fma_f16 v48, v49, s7, v48
	v_fma_f16 v29, v49, s7, v29
	;; [unrolled: 1-line block ×3, first 2 shown]
	v_sub_f16_e32 v46, v2, v4
	v_sub_f16_e32 v49, v8, v6
	v_fma_f16 v43, v38, s10, v43
	v_add_f16_e32 v41, v34, v2
	v_add_f16_e32 v46, v46, v49
	v_fma_f16 v43, v36, s6, v43
	v_add_f16_e32 v41, v41, v4
	v_fma_f16 v37, v46, s7, v37
	v_fma_f16 v43, v46, s7, v43
	v_add_f16_e32 v46, v2, v8
	v_add_f16_e32 v41, v41, v6
	v_fma_f16 v34, v46, -0.5, v34
	v_add_f16_e32 v41, v41, v8
	v_fma_f16 v46, v36, s10, v34
	v_sub_f16_e32 v2, v4, v2
	v_sub_f16_e32 v4, v6, v8
	v_add_f16_e32 v8, v30, v31
	v_fma_f16 v46, v38, s11, v46
	v_add_f16_e32 v2, v2, v4
	v_fma_f16 v6, v36, s14, v34
	v_fma_f16 v8, v8, -0.5, v28
	v_sub_f16_e32 v34, v3, v9
	v_fma_f16 v4, v2, s7, v46
	v_fma_f16 v6, v38, s6, v6
	;; [unrolled: 1-line block ×3, first 2 shown]
	v_sub_f16_e32 v38, v5, v7
	v_sub_f16_e32 v46, v13, v30
	;; [unrolled: 1-line block ×3, first 2 shown]
	v_fma_f16 v8, v34, s14, v8
	v_fma_f16 v36, v38, s6, v36
	v_add_f16_e32 v46, v46, v49
	v_fma_f16 v8, v38, s11, v8
	v_fma_f16 v36, v46, s7, v36
	;; [unrolled: 1-line block ×3, first 2 shown]
	v_add_f16_e32 v46, v13, v32
	v_fma_f16 v2, v2, s7, v6
	v_add_f16_e32 v6, v28, v13
	v_fma_f16 v28, v46, -0.5, v28
	v_add_f16_e32 v6, v6, v30
	v_fma_f16 v46, v38, s14, v28
	v_fma_f16 v28, v38, s10, v28
	v_add_f16_e32 v38, v5, v7
	v_add_f16_e32 v6, v6, v31
	v_sub_f16_e32 v49, v30, v13
	v_sub_f16_e32 v50, v31, v32
	v_fma_f16 v38, v38, -0.5, v35
	v_sub_f16_e32 v13, v13, v32
	v_add_f16_e32 v6, v6, v32
	v_fma_f16 v46, v34, s6, v46
	v_add_f16_e32 v49, v49, v50
	v_fma_f16 v28, v34, s11, v28
	v_fma_f16 v32, v13, s14, v38
	v_sub_f16_e32 v30, v30, v31
	v_fma_f16 v46, v49, s7, v46
	v_fma_f16 v28, v49, s7, v28
	;; [unrolled: 1-line block ×3, first 2 shown]
	v_sub_f16_e32 v32, v3, v5
	v_sub_f16_e32 v49, v9, v7
	v_fma_f16 v38, v13, s10, v38
	v_add_f16_e32 v32, v32, v49
	v_fma_f16 v38, v30, s6, v38
	v_add_f16_e32 v34, v35, v3
	v_fma_f16 v31, v32, s7, v31
	v_fma_f16 v32, v32, s7, v38
	v_add_f16_e32 v38, v3, v9
	v_add_f16_e32 v34, v34, v5
	v_fma_f16 v35, v38, -0.5, v35
	v_add_f16_e32 v34, v34, v7
	v_fma_f16 v38, v30, s10, v35
	v_sub_f16_e32 v3, v5, v3
	v_sub_f16_e32 v5, v7, v9
	v_fma_f16 v7, v30, s14, v35
	v_fma_f16 v38, v13, s11, v38
	v_add_f16_e32 v3, v3, v5
	v_fma_f16 v7, v13, s6, v7
	v_fma_f16 v5, v3, s7, v38
	;; [unrolled: 1-line block ×3, first 2 shown]
	v_mul_u32_u24_e32 v7, 0x294, v44
	v_add3_u32 v7, 0, v7, v45
	v_pack_b32_f16 v4, v48, v4
	v_pack_b32_f16 v2, v29, v2
	ds_write2_b32 v7, v4, v2 offset0:66 offset1:99
	v_pack_b32_f16 v2, v40, v43
	v_add_f16_e32 v34, v34, v9
	ds_write_b32 v7, v2 offset:528
	v_mul_u32_u24_e32 v2, 0x294, v39
	v_pack_b32_f16 v9, v33, v41
	v_pack_b32_f16 v13, v42, v37
	v_add3_u32 v2, 0, v2, v47
	v_pack_b32_f16 v4, v6, v34
	v_pack_b32_f16 v6, v36, v31
	ds_write2_b32 v7, v9, v13 offset1:33
	ds_write2_b32 v2, v4, v6 offset1:33
	v_pack_b32_f16 v4, v46, v5
	v_pack_b32_f16 v3, v28, v3
	ds_write2_b32 v2, v4, v3 offset0:66 offset1:99
	v_pack_b32_f16 v3, v8, v32
	ds_write_b32 v2, v3 offset:528
	s_and_saveexec_b64 s[4:5], s[0:1]
	s_cbranch_execz .LBB0_21
; %bb.20:
	v_mul_u32_u24_sdwa v2, v12, s15 dst_sel:DWORD dst_unused:UNUSED_PAD src0_sel:WORD_0 src1_sel:DWORD
	v_lshrrev_b32_e32 v2, 21, v2
	v_mul_lo_u16_e32 v2, 33, v2
	v_sub_u16_e32 v6, v12, v2
	v_lshlrev_b32_e32 v2, 4, v6
	global_load_dwordx4 v[2:5], v2, s[8:9] offset:88
	v_lshl_add_u32 v6, v6, 2, 0
	v_add_u32_e32 v7, 0x1800, v6
	s_waitcnt vmcnt(0)
	v_mul_f16_sdwa v8, v22, v3 dst_sel:DWORD dst_unused:UNUSED_PAD src0_sel:DWORD src1_sel:WORD_1
	v_mul_f16_sdwa v9, v20, v2 dst_sel:DWORD dst_unused:UNUSED_PAD src0_sel:DWORD src1_sel:WORD_1
	v_mul_f16_sdwa v12, v23, v4 dst_sel:DWORD dst_unused:UNUSED_PAD src0_sel:DWORD src1_sel:WORD_1
	v_mul_f16_sdwa v13, v24, v5 dst_sel:DWORD dst_unused:UNUSED_PAD src0_sel:DWORD src1_sel:WORD_1
	v_mul_f16_sdwa v28, v21, v2 dst_sel:DWORD dst_unused:UNUSED_PAD src0_sel:DWORD src1_sel:WORD_1
	v_mul_f16_sdwa v29, v25, v5 dst_sel:DWORD dst_unused:UNUSED_PAD src0_sel:DWORD src1_sel:WORD_1
	v_mul_f16_sdwa v30, v27, v3 dst_sel:DWORD dst_unused:UNUSED_PAD src0_sel:DWORD src1_sel:WORD_1
	v_mul_f16_sdwa v31, v26, v4 dst_sel:DWORD dst_unused:UNUSED_PAD src0_sel:DWORD src1_sel:WORD_1
	v_fma_f16 v8, v27, v3, v8
	v_fma_f16 v9, v21, v2, v9
	;; [unrolled: 1-line block ×4, first 2 shown]
	v_fma_f16 v2, v20, v2, -v28
	v_fma_f16 v5, v24, v5, -v29
	;; [unrolled: 1-line block ×4, first 2 shown]
	v_sub_f16_e32 v20, v8, v9
	v_sub_f16_e32 v21, v12, v13
	v_add_f16_e32 v23, v9, v13
	v_sub_f16_e32 v25, v9, v8
	v_sub_f16_e32 v26, v13, v12
	v_add_f16_e32 v27, v8, v12
	v_add_f16_e32 v31, v2, v5
	;; [unrolled: 1-line block ×3, first 2 shown]
	v_sub_f16_e32 v22, v2, v5
	v_add_f16_e32 v28, v19, v9
	v_sub_f16_e32 v29, v3, v2
	v_sub_f16_e32 v30, v4, v5
	;; [unrolled: 1-line block ×4, first 2 shown]
	v_add_f16_e32 v2, v18, v2
	v_add_f16_e32 v20, v20, v21
	v_fma_f16 v21, v23, -0.5, v19
	v_add_f16_e32 v23, v25, v26
	v_fma_f16 v19, v27, -0.5, v19
	v_fma_f16 v26, v31, -0.5, v18
	;; [unrolled: 1-line block ×3, first 2 shown]
	v_sub_f16_e32 v24, v3, v4
	v_sub_f16_e32 v32, v8, v12
	;; [unrolled: 1-line block ×3, first 2 shown]
	v_add_f16_e32 v8, v28, v8
	v_add_f16_e32 v25, v29, v30
	;; [unrolled: 1-line block ×3, first 2 shown]
	v_fma_f16 v28, v22, s10, v19
	v_fma_f16 v19, v22, s14, v19
	;; [unrolled: 1-line block ×4, first 2 shown]
	v_add_f16_e32 v27, v33, v34
	v_fma_f16 v3, v24, s14, v21
	v_fma_f16 v21, v24, s10, v21
	v_add_f16_e32 v8, v8, v12
	v_fma_f16 v12, v32, s10, v26
	v_fma_f16 v26, v32, s14, v26
	v_add_f16_e32 v2, v2, v4
	v_fma_f16 v19, v24, s11, v19
	v_fma_f16 v18, v32, s6, v18
	v_fma_f16 v3, v22, s6, v3
	v_fma_f16 v4, v22, s11, v21
	;; [unrolled: 1-line block ×3, first 2 shown]
	v_add_f16_e32 v8, v8, v13
	v_fma_f16 v12, v9, s11, v12
	v_fma_f16 v9, v9, s6, v26
	;; [unrolled: 1-line block ×3, first 2 shown]
	v_add_f16_e32 v2, v2, v5
	v_fma_f16 v19, v23, s7, v19
	v_fma_f16 v18, v27, s7, v18
	;; [unrolled: 1-line block ×8, first 2 shown]
	v_pack_b32_f16 v2, v2, v8
	v_pack_b32_f16 v8, v18, v19
	;; [unrolled: 1-line block ×5, first 2 shown]
	ds_write2_b32 v7, v2, v8 offset0:114 offset1:147
	ds_write2_b32 v7, v4, v3 offset0:180 offset1:213
	ds_write_b32 v6, v5 offset:7128
.LBB0_21:
	s_or_b64 exec, exec, s[4:5]
	s_waitcnt lgkmcnt(0)
	s_barrier
	s_and_saveexec_b64 s[0:1], vcc
	s_cbranch_execz .LBB0_23
; %bb.22:
	v_mul_u32_u24_e32 v2, 10, v11
	v_lshlrev_b32_e32 v13, 2, v2
	global_load_dwordx4 v[2:5], v13, s[8:9] offset:616
	global_load_dwordx2 v[11:12], v13, s[8:9] offset:648
	global_load_dwordx4 v[6:9], v13, s[8:9] offset:632
	ds_read_b32 v19, v17
	ds_read_b32 v20, v14 offset:6600
	ds_read_b32 v21, v14
	ds_read_b32 v22, v15
	;; [unrolled: 1-line block ×3, first 2 shown]
	v_add_u32_e32 v13, 0x1400, v14
	v_add_u32_e32 v15, 0xa00, v14
	;; [unrolled: 1-line block ×3, first 2 shown]
	ds_read2_b32 v[13:14], v13 offset0:40 offset1:205
	ds_read2_b32 v[15:16], v15 offset0:20 offset1:185
	;; [unrolled: 1-line block ×3, first 2 shown]
	s_mov_b32 s0, 0xbbad
	s_movk_i32 s1, 0x3abb
	s_mov_b32 s4, 0xb93d
	s_movk_i32 s5, 0x36a6
	s_mov_b32 s6, 0xb08e
	s_waitcnt vmcnt(2)
	v_lshrrev_b32_e32 v24, 16, v2
	s_waitcnt vmcnt(1)
	v_lshrrev_b32_e32 v29, 16, v12
	v_lshrrev_b32_e32 v25, 16, v3
	;; [unrolled: 1-line block ×4, first 2 shown]
	s_waitcnt lgkmcnt(6)
	v_mul_f16_sdwa v30, v12, v20 dst_sel:DWORD dst_unused:UNUSED_PAD src0_sel:DWORD src1_sel:WORD_1
	s_waitcnt lgkmcnt(4)
	v_mul_f16_sdwa v31, v2, v22 dst_sel:DWORD dst_unused:UNUSED_PAD src0_sel:DWORD src1_sel:WORD_1
	;; [unrolled: 2-line block ×3, first 2 shown]
	s_waitcnt vmcnt(0)
	v_lshrrev_b32_e32 v34, 16, v6
	v_lshrrev_b32_e32 v36, 16, v8
	v_mul_f16_sdwa v39, v4, v19 dst_sel:DWORD dst_unused:UNUSED_PAD src0_sel:DWORD src1_sel:WORD_1
	s_waitcnt lgkmcnt(0)
	v_mul_f16_sdwa v40, v8, v18 dst_sel:DWORD dst_unused:UNUSED_PAD src0_sel:DWORD src1_sel:WORD_1
	v_mul_f16_sdwa v44, v24, v22 dst_sel:DWORD dst_unused:UNUSED_PAD src0_sel:DWORD src1_sel:WORD_1
	;; [unrolled: 1-line block ×3, first 2 shown]
	v_lshrrev_b32_e32 v27, 16, v5
	v_mul_f16_sdwa v33, v3, v23 dst_sel:DWORD dst_unused:UNUSED_PAD src0_sel:DWORD src1_sel:WORD_1
	v_lshrrev_b32_e32 v35, 16, v7
	v_lshrrev_b32_e32 v37, 16, v9
	v_mul_f16_sdwa v38, v9, v13 dst_sel:DWORD dst_unused:UNUSED_PAD src0_sel:DWORD src1_sel:WORD_1
	v_mul_f16_sdwa v41, v5, v15 dst_sel:DWORD dst_unused:UNUSED_PAD src0_sel:DWORD src1_sel:WORD_1
	;; [unrolled: 1-line block ×3, first 2 shown]
	v_fma_f16 v29, v20, v29, v30
	v_fma_f16 v24, v24, v22, v31
	v_mul_f16_sdwa v30, v25, v23 dst_sel:DWORD dst_unused:UNUSED_PAD src0_sel:DWORD src1_sel:WORD_1
	v_mul_f16_sdwa v31, v28, v14 dst_sel:DWORD dst_unused:UNUSED_PAD src0_sel:DWORD src1_sel:WORD_1
	v_fma_f16 v28, v14, v28, v32
	v_mul_f16_sdwa v32, v26, v19 dst_sel:DWORD dst_unused:UNUSED_PAD src0_sel:DWORD src1_sel:WORD_1
	v_fma_f16 v26, v26, v19, v39
	;; [unrolled: 2-line block ×3, first 2 shown]
	v_mul_f16_sdwa v40, v34, v16 dst_sel:DWORD dst_unused:UNUSED_PAD src0_sel:DWORD src1_sel:WORD_1
	v_fma_f16 v2, v2, v22, -v44
	v_fma_f16 v12, v12, v20, -v45
	v_mul_f16_sdwa v42, v7, v17 dst_sel:DWORD dst_unused:UNUSED_PAD src0_sel:DWORD src1_sel:WORD_1
	v_fma_f16 v25, v25, v23, v33
	v_mul_f16_sdwa v33, v37, v13 dst_sel:DWORD dst_unused:UNUSED_PAD src0_sel:DWORD src1_sel:WORD_1
	v_fma_f16 v37, v13, v37, v38
	;; [unrolled: 2-line block ×4, first 2 shown]
	v_fma_f16 v3, v3, v23, -v30
	v_fma_f16 v11, v11, v14, -v31
	;; [unrolled: 1-line block ×3, first 2 shown]
	v_sub_f16_e32 v16, v2, v12
	v_fma_f16 v35, v17, v35, v42
	v_add_f16_e32 v20, v24, v29
	v_fma_f16 v4, v4, v19, -v32
	v_fma_f16 v9, v9, v13, -v33
	;; [unrolled: 1-line block ×3, first 2 shown]
	v_sub_f16_e32 v17, v3, v11
	v_mul_f16_e32 v23, 0xb482, v16
	v_add_f16_e32 v14, v25, v28
	v_fma_f16 v5, v5, v15, -v38
	v_fma_f16 v8, v8, v18, -v39
	v_sub_f16_e32 v18, v4, v9
	v_mul_f16_e32 v30, 0x3853, v17
	v_fma_f16 v38, v20, s0, v23
	v_add_f16_e32 v13, v26, v37
	v_sub_f16_e32 v19, v5, v8
	v_mul_f16_e32 v31, 0xba0c, v18
	v_fma_f16 v39, v14, s1, v30
	v_add_f16_sdwa v38, v38, v21 dst_sel:DWORD dst_unused:UNUSED_PAD src0_sel:DWORD src1_sel:WORD_1
	v_add_f16_e32 v15, v27, v36
	v_sub_f16_e32 v22, v6, v7
	v_mul_f16_e32 v32, 0x3b47, v19
	v_fma_f16 v40, v13, s4, v31
	v_add_f16_e32 v38, v38, v39
	v_mul_f16_e32 v33, 0xbbeb, v22
	v_fma_f16 v41, v15, s5, v32
	v_add_f16_e32 v38, v38, v40
	v_add_f16_e32 v39, v34, v35
	v_add_f16_e32 v38, v38, v41
	v_fma_f16 v40, v39, s6, v33
	v_sub_f16_e32 v41, v24, v29
	v_add_f16_e32 v38, v38, v40
	v_add_f16_e32 v40, v2, v12
	v_mul_f16_e32 v42, 0xb482, v41
	v_sub_f16_e32 v45, v25, v28
	v_fma_f16 v43, v40, s0, -v42
	v_add_f16_e32 v44, v3, v11
	v_mul_f16_e32 v46, 0x3853, v45
	v_add_f16_e32 v43, v43, v21
	v_fma_f16 v47, v44, s1, -v46
	v_sub_f16_e32 v48, v26, v37
	v_add_f16_e32 v43, v43, v47
	v_add_f16_e32 v47, v4, v9
	v_mul_f16_e32 v49, 0xba0c, v48
	v_fma_f16 v50, v47, s4, -v49
	v_sub_f16_e32 v51, v27, v36
	v_add_f16_e32 v43, v43, v50
	v_add_f16_e32 v50, v5, v8
	v_mul_f16_e32 v52, 0x3b47, v51
	v_add_f16_e32 v2, v2, v21
	v_fma_f16 v53, v50, s5, -v52
	v_sub_f16_e32 v54, v34, v35
	v_add_f16_e32 v2, v2, v3
	v_add_f16_e32 v43, v43, v53
	;; [unrolled: 1-line block ×3, first 2 shown]
	v_mul_f16_e32 v55, 0xbbeb, v54
	v_add_f16_e32 v2, v2, v4
	v_fma_f16 v56, v53, s6, -v55
	v_add_f16_e32 v2, v2, v5
	v_add_f16_e32 v43, v43, v56
	v_mul_f16_e32 v56, 0xba0c, v16
	v_add_f16_e32 v2, v2, v6
	v_fma_f16 v57, v20, s4, v56
	v_mul_f16_e32 v58, 0x3beb, v17
	v_add_f16_e32 v2, v2, v7
	v_add_f16_sdwa v57, v57, v21 dst_sel:DWORD dst_unused:UNUSED_PAD src0_sel:DWORD src1_sel:WORD_1
	v_fma_f16 v59, v14, s6, v58
	v_add_f16_e32 v2, v8, v2
	v_add_f16_e32 v57, v57, v59
	v_mul_f16_e32 v59, 0xb853, v18
	v_add_f16_e32 v2, v9, v2
	v_fma_f16 v60, v13, s1, v59
	v_add_f16_e32 v2, v11, v2
	v_add_f16_e32 v57, v57, v60
	v_mul_f16_e32 v60, 0xb482, v19
	v_add_f16_e32 v5, v12, v2
	v_add_f16_sdwa v2, v24, v21 dst_sel:DWORD dst_unused:UNUSED_PAD src0_sel:DWORD src1_sel:WORD_1
	v_fma_f16 v61, v15, s0, v60
	v_add_f16_e32 v2, v2, v25
	v_add_f16_e32 v57, v57, v61
	v_mul_f16_e32 v61, 0x3b47, v22
	v_add_f16_e32 v2, v2, v26
	v_fma_f16 v62, v39, s5, v61
	v_add_f16_e32 v2, v2, v27
	v_add_f16_e32 v57, v57, v62
	v_mul_f16_e32 v62, 0xba0c, v41
	v_add_f16_e32 v2, v2, v34
	v_fma_f16 v63, v40, s4, -v62
	v_mul_f16_e32 v64, 0x3beb, v45
	v_add_f16_e32 v2, v2, v35
	v_add_f16_e32 v63, v63, v21
	v_fma_f16 v65, v44, s6, -v64
	v_add_f16_e32 v2, v36, v2
	v_add_f16_e32 v63, v63, v65
	v_mul_f16_e32 v65, 0xb853, v48
	v_add_f16_e32 v2, v37, v2
	v_fma_f16 v66, v47, s1, -v65
	v_add_f16_e32 v2, v28, v2
	v_add_f16_e32 v63, v63, v66
	v_mul_f16_e32 v66, 0xb482, v51
	v_add_f16_e32 v6, v29, v2
	v_fma_f16 v2, v20, s0, -v23
	v_fma_f16 v67, v50, s0, -v66
	v_add_f16_sdwa v2, v2, v21 dst_sel:DWORD dst_unused:UNUSED_PAD src0_sel:DWORD src1_sel:WORD_1
	v_fma_f16 v3, v14, s1, -v30
	v_add_f16_e32 v63, v63, v67
	v_mul_f16_e32 v67, 0x3b47, v54
	v_add_f16_e32 v2, v2, v3
	v_fma_f16 v3, v13, s4, -v31
	v_fma_f16 v68, v53, s5, -v67
	v_add_f16_e32 v2, v2, v3
	v_fma_f16 v3, v15, s5, -v32
	v_add_f16_e32 v63, v63, v68
	v_mul_f16_e32 v68, 0xbbeb, v16
	v_add_f16_e32 v2, v2, v3
	v_fma_f16 v3, v39, s6, -v33
	v_fma_f16 v69, v20, s6, v68
	v_mul_f16_e32 v70, 0x3482, v17
	v_add_f16_e32 v7, v2, v3
	v_fma_f16 v2, v40, s0, v42
	v_add_f16_sdwa v69, v69, v21 dst_sel:DWORD dst_unused:UNUSED_PAD src0_sel:DWORD src1_sel:WORD_1
	v_fma_f16 v71, v14, s0, v70
	v_add_f16_e32 v2, v2, v21
	v_fma_f16 v3, v44, s1, v46
	v_add_f16_e32 v69, v69, v71
	v_mul_f16_e32 v71, 0x3b47, v18
	v_add_f16_e32 v2, v2, v3
	v_fma_f16 v3, v47, s4, v49
	v_fma_f16 v72, v13, s5, v71
	v_add_f16_e32 v2, v2, v3
	v_fma_f16 v3, v50, s5, v52
	v_add_f16_e32 v69, v69, v72
	v_mul_f16_e32 v72, 0xb853, v19
	v_add_f16_e32 v2, v2, v3
	v_fma_f16 v3, v53, s6, v55
	v_fma_f16 v73, v15, s1, v72
	v_add_f16_e32 v8, v2, v3
	v_fma_f16 v2, v20, s4, -v56
	v_add_f16_e32 v69, v69, v73
	v_mul_f16_e32 v73, 0xba0c, v22
	v_add_f16_sdwa v2, v2, v21 dst_sel:DWORD dst_unused:UNUSED_PAD src0_sel:DWORD src1_sel:WORD_1
	v_fma_f16 v3, v14, s6, -v58
	v_fma_f16 v74, v39, s4, v73
	v_add_f16_e32 v2, v2, v3
	v_fma_f16 v3, v13, s1, -v59
	v_add_f16_e32 v69, v69, v74
	v_mul_f16_e32 v74, 0xbbeb, v41
	v_add_f16_e32 v2, v2, v3
	v_fma_f16 v3, v15, s0, -v60
	v_fma_f16 v75, v40, s6, -v74
	v_mul_f16_e32 v76, 0x3482, v45
	v_add_f16_e32 v2, v2, v3
	v_fma_f16 v3, v39, s5, -v61
	v_add_f16_e32 v75, v75, v21
	v_fma_f16 v77, v44, s0, -v76
	v_add_f16_e32 v9, v2, v3
	v_fma_f16 v2, v40, s4, v62
	v_add_f16_e32 v75, v75, v77
	v_mul_f16_e32 v77, 0x3b47, v48
	v_add_f16_e32 v2, v2, v21
	v_fma_f16 v3, v44, s6, v64
	v_fma_f16 v78, v47, s5, -v77
	v_add_f16_e32 v2, v2, v3
	v_fma_f16 v3, v47, s1, v65
	v_add_f16_e32 v75, v75, v78
	v_mul_f16_e32 v78, 0xb853, v51
	v_add_f16_e32 v2, v2, v3
	v_fma_f16 v3, v50, s0, v66
	v_fma_f16 v79, v50, s1, -v78
	v_add_f16_e32 v2, v2, v3
	v_fma_f16 v3, v53, s5, v67
	v_add_f16_e32 v75, v75, v79
	v_mul_f16_e32 v79, 0xba0c, v54
	v_add_f16_e32 v11, v2, v3
	v_fma_f16 v2, v20, s6, -v68
	v_fma_f16 v80, v53, s4, -v79
	v_add_f16_sdwa v2, v2, v21 dst_sel:DWORD dst_unused:UNUSED_PAD src0_sel:DWORD src1_sel:WORD_1
	v_fma_f16 v3, v14, s0, -v70
	v_add_f16_e32 v75, v75, v80
	v_mul_f16_e32 v80, 0xbb47, v16
	v_add_f16_e32 v2, v2, v3
	v_fma_f16 v3, v13, s5, -v71
	v_fma_f16 v81, v20, s5, v80
	v_mul_f16_e32 v82, 0xba0c, v17
	v_add_f16_e32 v2, v2, v3
	v_fma_f16 v3, v15, s1, -v72
	v_add_f16_sdwa v81, v81, v21 dst_sel:DWORD dst_unused:UNUSED_PAD src0_sel:DWORD src1_sel:WORD_1
	v_fma_f16 v83, v14, s4, v82
	v_add_f16_e32 v2, v2, v3
	v_fma_f16 v3, v39, s4, -v73
	v_add_f16_e32 v81, v81, v83
	v_mul_f16_e32 v83, 0x3482, v18
	v_add_f16_e32 v12, v2, v3
	v_fma_f16 v2, v40, s6, v74
	v_fma_f16 v84, v13, s0, v83
	v_add_f16_e32 v2, v2, v21
	v_fma_f16 v3, v44, s0, v76
	v_add_f16_e32 v81, v81, v84
	v_mul_f16_e32 v84, 0x3beb, v19
	v_add_f16_e32 v2, v2, v3
	v_fma_f16 v3, v47, s5, v77
	v_fma_f16 v85, v15, s6, v84
	v_add_f16_e32 v2, v2, v3
	v_fma_f16 v3, v50, s1, v78
	v_add_f16_e32 v81, v81, v85
	v_mul_f16_e32 v85, 0x3853, v22
	v_add_f16_e32 v2, v2, v3
	v_fma_f16 v3, v53, s4, v79
	v_fma_f16 v86, v39, s1, v85
	v_add_f16_e32 v23, v2, v3
	v_fma_f16 v2, v20, s5, -v80
	v_add_f16_e32 v81, v81, v86
	v_mul_f16_e32 v86, 0xbb47, v41
	v_add_f16_sdwa v2, v2, v21 dst_sel:DWORD dst_unused:UNUSED_PAD src0_sel:DWORD src1_sel:WORD_1
	v_fma_f16 v3, v14, s4, -v82
	v_fma_f16 v87, v40, s5, -v86
	v_mul_f16_e32 v88, 0xba0c, v45
	v_add_f16_e32 v2, v2, v3
	v_fma_f16 v3, v13, s0, -v83
	v_add_f16_e32 v87, v87, v21
	v_fma_f16 v89, v44, s4, -v88
	;; [unrolled: 2-line block ×3, first 2 shown]
	v_add_f16_e32 v87, v87, v89
	v_mul_f16_e32 v89, 0x3482, v48
	v_add_f16_e32 v2, v2, v3
	v_fma_f16 v3, v39, s1, -v85
	v_fma_f16 v90, v47, s0, -v89
	v_add_f16_e32 v24, v2, v3
	v_fma_f16 v2, v40, s5, v86
	v_add_f16_e32 v87, v87, v90
	v_mul_f16_e32 v90, 0x3beb, v51
	v_add_f16_e32 v2, v2, v21
	v_fma_f16 v3, v44, s4, v88
	v_fma_f16 v91, v50, s6, -v90
	v_add_f16_e32 v2, v2, v3
	v_fma_f16 v3, v47, s0, v89
	v_add_f16_e32 v87, v87, v91
	v_mul_f16_e32 v91, 0x3853, v54
	v_add_f16_e32 v2, v2, v3
	v_fma_f16 v3, v50, s6, v90
	v_mul_f16_e32 v16, 0xb853, v16
	v_add_f16_e32 v2, v2, v3
	v_fma_f16 v3, v53, s1, v91
	v_mul_f16_e32 v17, 0xbb47, v17
	v_add_f16_e32 v25, v2, v3
	v_fma_f16 v2, v20, s1, -v16
	v_mul_f16_e32 v18, 0xbbeb, v18
	v_add_f16_sdwa v2, v2, v21 dst_sel:DWORD dst_unused:UNUSED_PAD src0_sel:DWORD src1_sel:WORD_1
	v_fma_f16 v3, v14, s5, -v17
	v_fma_f16 v92, v53, s1, -v91
	v_mul_f16_e32 v19, 0xba0c, v19
	v_add_f16_e32 v2, v2, v3
	v_fma_f16 v3, v13, s6, -v18
	v_add_f16_e32 v87, v87, v92
	v_fma_f16 v92, v20, s1, v16
	v_mul_f16_e32 v22, 0xb482, v22
	v_add_f16_e32 v2, v2, v3
	v_fma_f16 v3, v15, s4, -v19
	v_add_f16_sdwa v92, v92, v21 dst_sel:DWORD dst_unused:UNUSED_PAD src0_sel:DWORD src1_sel:WORD_1
	v_fma_f16 v93, v14, s5, v17
	v_mul_f16_e32 v41, 0xb853, v41
	v_add_f16_e32 v2, v2, v3
	v_fma_f16 v3, v39, s0, -v22
	v_add_f16_e32 v92, v92, v93
	v_fma_f16 v93, v13, s6, v18
	v_mul_f16_e32 v45, 0xbb47, v45
	v_add_f16_e32 v13, v2, v3
	v_fma_f16 v2, v40, s1, v41
	v_add_f16_e32 v92, v92, v93
	v_fma_f16 v93, v15, s4, v19
	;; [unrolled: 2-line block ×4, first 2 shown]
	v_add_f16_e32 v4, v2, v3
	v_mad_u64_u32 v[2:3], s[8:9], s2, v10, 0
	v_add_f16_e32 v92, v92, v93
	v_fma_f16 v93, v40, s1, -v41
	v_add_f16_e32 v93, v93, v21
	v_fma_f16 v94, v44, s5, -v45
	v_mul_f16_e32 v48, 0xbbeb, v48
	v_add_f16_e32 v93, v93, v94
	v_fma_f16 v94, v47, s6, -v48
	v_mul_f16_e32 v51, 0xba0c, v51
	v_fma_f16 v14, v47, s6, v48
	v_add_f16_e32 v93, v93, v94
	v_fma_f16 v94, v50, s4, -v51
	v_mul_f16_e32 v54, 0xb482, v54
	v_add_f16_e32 v14, v4, v14
	v_fma_f16 v15, v50, s4, v51
	v_mad_u64_u32 v[3:4], s[4:5], s3, v10, v[3:4]
	v_add_f16_e32 v4, v14, v15
	v_fma_f16 v14, v53, s0, v54
	v_add_f16_e32 v14, v4, v14
	v_mov_b32_e32 v4, s13
	v_add_co_u32_e32 v15, vcc, s12, v0
	v_addc_co_u32_e32 v16, vcc, v4, v1, vcc
	v_add_u32_e32 v4, 0xa5, v10
	v_add_f16_e32 v93, v93, v94
	v_fma_f16 v94, v53, s0, -v54
	v_lshlrev_b64 v[0:1], 2, v[2:3]
	v_mad_u64_u32 v[2:3], s[0:1], s2, v4, 0
	v_add_u32_e32 v17, 0x14a, v10
	v_pack_b32_f16 v6, v5, v6
	v_mad_u64_u32 v[3:4], s[0:1], s3, v4, v[3:4]
	v_mad_u64_u32 v[4:5], s[0:1], s2, v17, 0
	v_add_co_u32_e32 v0, vcc, v15, v0
	v_addc_co_u32_e32 v1, vcc, v16, v1, vcc
	global_store_dword v[0:1], v6, off
	v_lshlrev_b64 v[0:1], 2, v[2:3]
	v_mov_b32_e32 v2, v5
	v_mad_u64_u32 v[2:3], s[0:1], s3, v17, v[2:3]
	v_add_f16_e32 v93, v93, v94
	v_add_co_u32_e32 v0, vcc, v15, v0
	v_addc_co_u32_e32 v1, vcc, v16, v1, vcc
	v_pack_b32_f16 v3, v93, v92
	v_mov_b32_e32 v5, v2
	global_store_dword v[0:1], v3, off
	v_lshlrev_b64 v[0:1], 2, v[4:5]
	v_add_u32_e32 v4, 0x1ef, v10
	v_mad_u64_u32 v[2:3], s[0:1], s2, v4, 0
	v_add_u32_e32 v17, 0x294, v10
	v_add_co_u32_e32 v0, vcc, v15, v0
	v_mad_u64_u32 v[3:4], s[0:1], s3, v4, v[3:4]
	v_mad_u64_u32 v[4:5], s[0:1], s2, v17, 0
	v_addc_co_u32_e32 v1, vcc, v16, v1, vcc
	v_pack_b32_f16 v6, v87, v81
	global_store_dword v[0:1], v6, off
	v_lshlrev_b64 v[0:1], 2, v[2:3]
	v_mov_b32_e32 v2, v5
	v_mad_u64_u32 v[2:3], s[0:1], s3, v17, v[2:3]
	v_add_co_u32_e32 v0, vcc, v15, v0
	v_addc_co_u32_e32 v1, vcc, v16, v1, vcc
	v_pack_b32_f16 v3, v75, v69
	v_mov_b32_e32 v5, v2
	global_store_dword v[0:1], v3, off
	v_lshlrev_b64 v[0:1], 2, v[4:5]
	v_add_u32_e32 v4, 0x339, v10
	v_mad_u64_u32 v[2:3], s[0:1], s2, v4, 0
	v_add_u32_e32 v17, 0x3de, v10
	v_add_co_u32_e32 v0, vcc, v15, v0
	v_mad_u64_u32 v[3:4], s[0:1], s3, v4, v[3:4]
	v_mad_u64_u32 v[4:5], s[0:1], s2, v17, 0
	v_addc_co_u32_e32 v1, vcc, v16, v1, vcc
	v_pack_b32_f16 v6, v63, v57
	global_store_dword v[0:1], v6, off
	v_lshlrev_b64 v[0:1], 2, v[2:3]
	v_mov_b32_e32 v2, v5
	v_mad_u64_u32 v[2:3], s[0:1], s3, v17, v[2:3]
	v_add_co_u32_e32 v0, vcc, v15, v0
	v_addc_co_u32_e32 v1, vcc, v16, v1, vcc
	v_pack_b32_f16 v3, v43, v38
	v_mov_b32_e32 v5, v2
	global_store_dword v[0:1], v3, off
	v_lshlrev_b64 v[0:1], 2, v[4:5]
	v_add_u32_e32 v4, 0x483, v10
	v_mad_u64_u32 v[2:3], s[0:1], s2, v4, 0
	v_pack_b32_f16 v6, v8, v7
	v_add_u32_e32 v7, 0x528, v10
	v_mad_u64_u32 v[3:4], s[0:1], s3, v4, v[3:4]
	v_mad_u64_u32 v[4:5], s[0:1], s2, v7, 0
	v_add_co_u32_e32 v0, vcc, v15, v0
	v_addc_co_u32_e32 v1, vcc, v16, v1, vcc
	global_store_dword v[0:1], v6, off
	v_lshlrev_b64 v[0:1], 2, v[2:3]
	v_mov_b32_e32 v2, v5
	v_mad_u64_u32 v[2:3], s[0:1], s3, v7, v[2:3]
	v_add_co_u32_e32 v0, vcc, v15, v0
	v_addc_co_u32_e32 v1, vcc, v16, v1, vcc
	v_pack_b32_f16 v3, v11, v9
	v_mov_b32_e32 v5, v2
	global_store_dword v[0:1], v3, off
	v_lshlrev_b64 v[0:1], 2, v[4:5]
	v_add_u32_e32 v4, 0x5cd, v10
	v_mad_u64_u32 v[2:3], s[0:1], s2, v4, 0
	v_add_u32_e32 v7, 0x672, v10
	v_add_co_u32_e32 v0, vcc, v15, v0
	v_mad_u64_u32 v[3:4], s[0:1], s3, v4, v[3:4]
	v_mad_u64_u32 v[4:5], s[0:1], s2, v7, 0
	v_addc_co_u32_e32 v1, vcc, v16, v1, vcc
	v_pack_b32_f16 v6, v23, v12
	global_store_dword v[0:1], v6, off
	v_lshlrev_b64 v[0:1], 2, v[2:3]
	v_mov_b32_e32 v2, v5
	v_mad_u64_u32 v[2:3], s[0:1], s3, v7, v[2:3]
	v_add_co_u32_e32 v0, vcc, v15, v0
	v_addc_co_u32_e32 v1, vcc, v16, v1, vcc
	v_pack_b32_f16 v3, v25, v24
	v_mov_b32_e32 v5, v2
	global_store_dword v[0:1], v3, off
	v_lshlrev_b64 v[0:1], 2, v[4:5]
	v_pack_b32_f16 v2, v14, v13
	v_add_co_u32_e32 v0, vcc, v15, v0
	v_addc_co_u32_e32 v1, vcc, v16, v1, vcc
	global_store_dword v[0:1], v2, off
.LBB0_23:
	s_endpgm
	.section	.rodata,"a",@progbits
	.p2align	6, 0x0
	.amdhsa_kernel fft_rtc_fwd_len1815_factors_11_3_5_11_wgs_165_tpt_165_half_ip_CI_sbrr_dirReg
		.amdhsa_group_segment_fixed_size 0
		.amdhsa_private_segment_fixed_size 0
		.amdhsa_kernarg_size 88
		.amdhsa_user_sgpr_count 6
		.amdhsa_user_sgpr_private_segment_buffer 1
		.amdhsa_user_sgpr_dispatch_ptr 0
		.amdhsa_user_sgpr_queue_ptr 0
		.amdhsa_user_sgpr_kernarg_segment_ptr 1
		.amdhsa_user_sgpr_dispatch_id 0
		.amdhsa_user_sgpr_flat_scratch_init 0
		.amdhsa_user_sgpr_private_segment_size 0
		.amdhsa_uses_dynamic_stack 0
		.amdhsa_system_sgpr_private_segment_wavefront_offset 0
		.amdhsa_system_sgpr_workgroup_id_x 1
		.amdhsa_system_sgpr_workgroup_id_y 0
		.amdhsa_system_sgpr_workgroup_id_z 0
		.amdhsa_system_sgpr_workgroup_info 0
		.amdhsa_system_vgpr_workitem_id 0
		.amdhsa_next_free_vgpr 95
		.amdhsa_next_free_sgpr 24
		.amdhsa_reserve_vcc 1
		.amdhsa_reserve_flat_scratch 0
		.amdhsa_float_round_mode_32 0
		.amdhsa_float_round_mode_16_64 0
		.amdhsa_float_denorm_mode_32 3
		.amdhsa_float_denorm_mode_16_64 3
		.amdhsa_dx10_clamp 1
		.amdhsa_ieee_mode 1
		.amdhsa_fp16_overflow 0
		.amdhsa_exception_fp_ieee_invalid_op 0
		.amdhsa_exception_fp_denorm_src 0
		.amdhsa_exception_fp_ieee_div_zero 0
		.amdhsa_exception_fp_ieee_overflow 0
		.amdhsa_exception_fp_ieee_underflow 0
		.amdhsa_exception_fp_ieee_inexact 0
		.amdhsa_exception_int_div_zero 0
	.end_amdhsa_kernel
	.text
.Lfunc_end0:
	.size	fft_rtc_fwd_len1815_factors_11_3_5_11_wgs_165_tpt_165_half_ip_CI_sbrr_dirReg, .Lfunc_end0-fft_rtc_fwd_len1815_factors_11_3_5_11_wgs_165_tpt_165_half_ip_CI_sbrr_dirReg
                                        ; -- End function
	.section	.AMDGPU.csdata,"",@progbits
; Kernel info:
; codeLenInByte = 10400
; NumSgprs: 28
; NumVgprs: 95
; ScratchSize: 0
; MemoryBound: 0
; FloatMode: 240
; IeeeMode: 1
; LDSByteSize: 0 bytes/workgroup (compile time only)
; SGPRBlocks: 3
; VGPRBlocks: 23
; NumSGPRsForWavesPerEU: 28
; NumVGPRsForWavesPerEU: 95
; Occupancy: 2
; WaveLimiterHint : 1
; COMPUTE_PGM_RSRC2:SCRATCH_EN: 0
; COMPUTE_PGM_RSRC2:USER_SGPR: 6
; COMPUTE_PGM_RSRC2:TRAP_HANDLER: 0
; COMPUTE_PGM_RSRC2:TGID_X_EN: 1
; COMPUTE_PGM_RSRC2:TGID_Y_EN: 0
; COMPUTE_PGM_RSRC2:TGID_Z_EN: 0
; COMPUTE_PGM_RSRC2:TIDIG_COMP_CNT: 0
	.type	__hip_cuid_cfbd83f84a8eade4,@object ; @__hip_cuid_cfbd83f84a8eade4
	.section	.bss,"aw",@nobits
	.globl	__hip_cuid_cfbd83f84a8eade4
__hip_cuid_cfbd83f84a8eade4:
	.byte	0                               ; 0x0
	.size	__hip_cuid_cfbd83f84a8eade4, 1

	.ident	"AMD clang version 19.0.0git (https://github.com/RadeonOpenCompute/llvm-project roc-6.4.0 25133 c7fe45cf4b819c5991fe208aaa96edf142730f1d)"
	.section	".note.GNU-stack","",@progbits
	.addrsig
	.addrsig_sym __hip_cuid_cfbd83f84a8eade4
	.amdgpu_metadata
---
amdhsa.kernels:
  - .args:
      - .actual_access:  read_only
        .address_space:  global
        .offset:         0
        .size:           8
        .value_kind:     global_buffer
      - .offset:         8
        .size:           8
        .value_kind:     by_value
      - .actual_access:  read_only
        .address_space:  global
        .offset:         16
        .size:           8
        .value_kind:     global_buffer
      - .actual_access:  read_only
        .address_space:  global
        .offset:         24
        .size:           8
        .value_kind:     global_buffer
      - .offset:         32
        .size:           8
        .value_kind:     by_value
      - .actual_access:  read_only
        .address_space:  global
        .offset:         40
        .size:           8
        .value_kind:     global_buffer
      - .actual_access:  read_only
        .address_space:  global
        .offset:         48
        .size:           8
        .value_kind:     global_buffer
      - .offset:         56
        .size:           4
        .value_kind:     by_value
      - .actual_access:  read_only
        .address_space:  global
        .offset:         64
        .size:           8
        .value_kind:     global_buffer
      - .actual_access:  read_only
        .address_space:  global
        .offset:         72
        .size:           8
        .value_kind:     global_buffer
      - .address_space:  global
        .offset:         80
        .size:           8
        .value_kind:     global_buffer
    .group_segment_fixed_size: 0
    .kernarg_segment_align: 8
    .kernarg_segment_size: 88
    .language:       OpenCL C
    .language_version:
      - 2
      - 0
    .max_flat_workgroup_size: 165
    .name:           fft_rtc_fwd_len1815_factors_11_3_5_11_wgs_165_tpt_165_half_ip_CI_sbrr_dirReg
    .private_segment_fixed_size: 0
    .sgpr_count:     28
    .sgpr_spill_count: 0
    .symbol:         fft_rtc_fwd_len1815_factors_11_3_5_11_wgs_165_tpt_165_half_ip_CI_sbrr_dirReg.kd
    .uniform_work_group_size: 1
    .uses_dynamic_stack: false
    .vgpr_count:     95
    .vgpr_spill_count: 0
    .wavefront_size: 64
amdhsa.target:   amdgcn-amd-amdhsa--gfx906
amdhsa.version:
  - 1
  - 2
...

	.end_amdgpu_metadata
